;; amdgpu-corpus repo=ROCm/rocFFT kind=compiled arch=gfx1030 opt=O3
	.text
	.amdgcn_target "amdgcn-amd-amdhsa--gfx1030"
	.amdhsa_code_object_version 6
	.protected	bluestein_single_fwd_len1785_dim1_sp_op_CI_CI ; -- Begin function bluestein_single_fwd_len1785_dim1_sp_op_CI_CI
	.globl	bluestein_single_fwd_len1785_dim1_sp_op_CI_CI
	.p2align	8
	.type	bluestein_single_fwd_len1785_dim1_sp_op_CI_CI,@function
bluestein_single_fwd_len1785_dim1_sp_op_CI_CI: ; @bluestein_single_fwd_len1785_dim1_sp_op_CI_CI
; %bb.0:
	s_load_dwordx4 s[0:3], s[4:5], 0x28
	v_mul_u32_u24_e32 v1, 0x227, v0
	v_mov_b32_e32 v125, 0
	v_lshrrev_b32_e32 v1, 16, v1
	v_add_nc_u32_e32 v124, s6, v1
	s_waitcnt lgkmcnt(0)
	v_cmp_gt_u64_e32 vcc_lo, s[0:1], v[124:125]
	s_and_saveexec_b32 s0, vcc_lo
	s_cbranch_execz .LBB0_23
; %bb.1:
	s_clause 0x1
	s_load_dwordx2 s[12:13], s[4:5], 0x0
	s_load_dwordx2 s[14:15], s[4:5], 0x38
	v_mul_lo_u16 v1, 0x77, v1
	v_sub_nc_u16 v0, v0, v1
	v_and_b32_e32 v128, 0xffff, v0
	v_cmp_gt_u16_e32 vcc_lo, 0x69, v0
	v_lshlrev_b32_e32 v127, 3, v128
	s_and_saveexec_b32 s1, vcc_lo
	s_cbranch_execz .LBB0_3
; %bb.2:
	s_load_dwordx2 s[6:7], s[4:5], 0x18
	s_waitcnt lgkmcnt(0)
	v_add_co_u32 v23, s0, s12, v127
	v_add_co_ci_u32_e64 v24, null, s13, 0, s0
	v_add_nc_u32_e32 v70, 0x400, v127
	v_add_co_u32 v6, s0, 0x800, v23
	v_add_co_ci_u32_e64 v7, s0, 0, v24, s0
	v_add_co_u32 v10, s0, 0x1000, v23
	v_add_co_ci_u32_e64 v11, s0, 0, v24, s0
	;; [unrolled: 2-line block ×3, first 2 shown]
	v_add_co_u32 v16, s0, 0x2000, v23
	s_load_dwordx4 s[8:11], s[6:7], 0x0
	v_add_co_ci_u32_e64 v17, s0, 0, v24, s0
	s_clause 0x2
	global_load_dwordx2 v[0:1], v127, s[12:13]
	global_load_dwordx2 v[2:3], v127, s[12:13] offset:840
	global_load_dwordx2 v[4:5], v127, s[12:13] offset:1680
	v_add_nc_u32_e32 v71, 0xc00, v127
	v_add_nc_u32_e32 v72, 0x1000, v127
	;; [unrolled: 1-line block ×6, first 2 shown]
	s_waitcnt lgkmcnt(0)
	v_mad_u64_u32 v[8:9], null, s10, v124, 0
	v_mad_u64_u32 v[14:15], null, s8, v128, 0
	s_mul_i32 s6, s9, 0x348
	s_mul_hi_u32 s7, s8, 0x348
	s_add_i32 s7, s7, s6
	v_mad_u64_u32 v[18:19], null, s11, v124, v[9:10]
	v_mov_b32_e32 v9, v15
	v_add_co_u32 v19, s0, 0x2800, v23
	v_add_co_ci_u32_e64 v20, s0, 0, v24, s0
	v_mad_u64_u32 v[21:22], null, s9, v128, v[9:10]
	v_mov_b32_e32 v9, v18
	v_add_co_u32 v22, s0, 0x3000, v23
	v_add_co_ci_u32_e64 v23, s0, 0, v24, s0
	v_lshlrev_b64 v[8:9], 3, v[8:9]
	v_mov_b32_e32 v15, v21
	s_clause 0x9
	global_load_dwordx2 v[24:25], v[6:7], off offset:472
	global_load_dwordx2 v[6:7], v[6:7], off offset:1312
	;; [unrolled: 1-line block ×10, first 2 shown]
	v_lshlrev_b64 v[14:15], 3, v[14:15]
	v_add_co_u32 v8, s0, s2, v8
	v_add_co_ci_u32_e64 v9, s0, s3, v9, s0
	s_mul_i32 s2, s8, 0x348
	v_add_co_u32 v8, s0, v8, v14
	v_add_co_ci_u32_e64 v9, s0, v9, v15, s0
	s_clause 0x1
	global_load_dwordx2 v[40:41], v[19:20], off offset:680
	global_load_dwordx2 v[18:19], v[19:20], off offset:1520
	v_add_co_u32 v14, s0, v8, s2
	v_add_co_ci_u32_e64 v15, s0, s7, v9, s0
	v_add_co_u32 v32, s0, v14, s2
	v_add_co_ci_u32_e64 v33, s0, s7, v15, s0
	;; [unrolled: 2-line block ×4, first 2 shown]
	s_clause 0x3
	global_load_dwordx2 v[8:9], v[8:9], off
	global_load_dwordx2 v[14:15], v[14:15], off
	;; [unrolled: 1-line block ×4, first 2 shown]
	v_add_co_u32 v42, s0, v20, s2
	v_add_co_ci_u32_e64 v43, s0, s7, v21, s0
	global_load_dwordx2 v[20:21], v[20:21], off
	v_add_co_u32 v44, s0, v42, s2
	v_add_co_ci_u32_e64 v45, s0, s7, v43, s0
	global_load_dwordx2 v[42:43], v[42:43], off
	;; [unrolled: 3-line block ×12, first 2 shown]
	s_clause 0x1
	global_load_dwordx2 v[66:67], v[22:23], off offset:312
	global_load_dwordx2 v[22:23], v[22:23], off offset:1152
	global_load_dwordx2 v[64:65], v[64:65], off
	s_waitcnt vmcnt(18)
	v_mul_f32_e32 v68, v9, v1
	v_mul_f32_e32 v69, v8, v1
	s_waitcnt vmcnt(17)
	v_mul_f32_e32 v1, v15, v3
	v_fmac_f32_e32 v68, v8, v0
	v_fma_f32 v69, v9, v0, -v69
	v_mul_f32_e32 v0, v14, v3
	s_waitcnt vmcnt(16)
	v_mul_f32_e32 v3, v33, v5
	v_mul_f32_e32 v5, v32, v5
	s_waitcnt vmcnt(15)
	v_mul_f32_e32 v8, v39, v25
	v_mul_f32_e32 v9, v38, v25
	v_fmac_f32_e32 v1, v14, v2
	v_fma_f32 v2, v15, v2, -v0
	v_fmac_f32_e32 v3, v32, v4
	v_fma_f32 v4, v33, v4, -v5
	;; [unrolled: 2-line block ×3, first 2 shown]
	s_waitcnt vmcnt(14)
	v_mul_f32_e32 v0, v21, v7
	v_mul_f32_e32 v5, v20, v7
	ds_write2_b64 v127, v[68:69], v[1:2] offset1:105
	s_waitcnt vmcnt(13)
	v_mul_f32_e32 v2, v43, v27
	ds_write2_b64 v70, v[3:4], v[8:9] offset0:82 offset1:187
	v_mul_f32_e32 v3, v42, v27
	v_fmac_f32_e32 v0, v20, v6
	v_fma_f32 v1, v21, v6, -v5
	s_waitcnt vmcnt(12)
	v_mul_f32_e32 v4, v45, v29
	v_mul_f32_e32 v5, v44, v29
	s_waitcnt vmcnt(11)
	v_mul_f32_e32 v6, v47, v11
	v_mul_f32_e32 v7, v46, v11
	v_fmac_f32_e32 v2, v42, v26
	v_fma_f32 v3, v43, v26, -v3
	v_fmac_f32_e32 v4, v44, v28
	v_fma_f32 v5, v45, v28, -v5
	;; [unrolled: 2-line block ×3, first 2 shown]
	ds_write2_b64 v71, v[0:1], v[2:3] offset0:36 offset1:141
	s_waitcnt vmcnt(9)
	v_mul_f32_e32 v0, v51, v13
	v_mul_f32_e32 v1, v50, v13
	;; [unrolled: 1-line block ×3, first 2 shown]
	ds_write2_b64 v72, v[4:5], v[6:7] offset0:118 offset1:223
	v_mul_f32_e32 v9, v48, v31
	s_waitcnt vmcnt(8)
	v_mul_f32_e32 v2, v53, v35
	v_mul_f32_e32 v3, v52, v35
	s_waitcnt vmcnt(7)
	v_mul_f32_e32 v4, v55, v37
	v_mul_f32_e32 v5, v54, v37
	v_fmac_f32_e32 v0, v50, v12
	v_fma_f32 v1, v51, v12, -v1
	s_waitcnt vmcnt(6)
	v_mul_f32_e32 v6, v57, v17
	v_mul_f32_e32 v7, v56, v17
	v_fmac_f32_e32 v8, v48, v30
	v_fma_f32 v9, v49, v30, -v9
	v_fmac_f32_e32 v2, v52, v34
	s_waitcnt vmcnt(5)
	v_mul_f32_e32 v10, v59, v41
	v_mul_f32_e32 v11, v58, v41
	v_fmac_f32_e32 v6, v56, v16
	v_fma_f32 v7, v57, v16, -v7
	v_fma_f32 v3, v53, v34, -v3
	s_waitcnt vmcnt(4)
	v_mul_f32_e32 v12, v61, v19
	v_mul_f32_e32 v13, v60, v19
	v_fmac_f32_e32 v4, v54, v36
	s_waitcnt vmcnt(2)
	v_mul_f32_e32 v14, v63, v67
	v_mul_f32_e32 v15, v62, v67
	s_waitcnt vmcnt(0)
	v_mul_f32_e32 v16, v65, v23
	v_mul_f32_e32 v17, v64, v23
	v_fma_f32 v5, v55, v36, -v5
	v_fmac_f32_e32 v10, v58, v40
	v_fma_f32 v11, v59, v40, -v11
	v_fmac_f32_e32 v12, v60, v18
	;; [unrolled: 2-line block ×4, first 2 shown]
	v_fma_f32 v17, v65, v22, -v17
	ds_write2_b64 v73, v[8:9], v[0:1] offset0:72 offset1:177
	ds_write2_b64 v74, v[2:3], v[4:5] offset0:26 offset1:131
	ds_write2_b64 v75, v[6:7], v[10:11] offset0:108 offset1:213
	ds_write2_b64 v76, v[12:13], v[14:15] offset0:62 offset1:167
	ds_write_b64 v127, v[16:17] offset:13440
.LBB0_3:
	s_or_b32 exec_lo, exec_lo, s1
	s_clause 0x1
	s_load_dwordx2 s[0:1], s[4:5], 0x20
	s_load_dwordx2 s[2:3], s[4:5], 0x8
	v_mov_b32_e32 v0, 0
	v_mov_b32_e32 v1, 0
	s_waitcnt lgkmcnt(0)
	s_barrier
	buffer_gl0_inv
                                        ; implicit-def: $vgpr12
                                        ; implicit-def: $vgpr8
                                        ; implicit-def: $vgpr32
                                        ; implicit-def: $vgpr6
                                        ; implicit-def: $vgpr22
                                        ; implicit-def: $vgpr26
                                        ; implicit-def: $vgpr18
                                        ; implicit-def: $vgpr30
                                        ; kill: def $vgpr2 killed $sgpr0 killed $exec
	s_and_saveexec_b32 s4, vcc_lo
	s_cbranch_execz .LBB0_5
; %bb.4:
	v_add_nc_u32_e32 v4, 0x400, v127
	v_add_nc_u32_e32 v5, 0xc00, v127
	;; [unrolled: 1-line block ×3, first 2 shown]
	ds_read2_b64 v[0:3], v127 offset1:105
	v_add_nc_u32_e32 v7, 0x2400, v127
	ds_read2_b64 v[28:31], v4 offset0:82 offset1:187
	ds_read2_b64 v[16:19], v5 offset0:36 offset1:141
	v_add_nc_u32_e32 v4, 0x1800, v127
	v_add_nc_u32_e32 v5, 0x2000, v127
	;; [unrolled: 1-line block ×3, first 2 shown]
	ds_read2_b64 v[24:27], v6 offset0:118 offset1:223
	ds_read2_b64 v[20:23], v4 offset0:72 offset1:177
	;; [unrolled: 1-line block ×5, first 2 shown]
	ds_read_b64 v[32:33], v127 offset:13440
.LBB0_5:
	s_or_b32 exec_lo, exec_lo, s4
	s_waitcnt lgkmcnt(0)
	v_sub_f32_e32 v87, v3, v33
	v_sub_f32_e32 v73, v2, v32
	v_add_f32_e32 v34, v32, v2
	v_sub_f32_e32 v91, v29, v7
	v_add_f32_e32 v36, v33, v3
	v_mul_f32_e32 v50, 0xbeb8f4ab, v87
	v_mul_f32_e32 v52, 0xbeb8f4ab, v73
	v_add_f32_e32 v35, v6, v28
	v_sub_f32_e32 v72, v28, v6
	v_mul_f32_e32 v51, 0xbf2c7751, v91
	v_fmamk_f32 v37, v34, 0x3f6eb680, v50
	v_fma_f32 v38, 0x3f6eb680, v36, -v52
	v_mul_f32_e32 v61, 0xbf2c7751, v87
	v_mul_f32_e32 v54, 0xbf2c7751, v72
	v_fmamk_f32 v42, v35, 0x3f3d2fb0, v51
	v_add_f32_e32 v39, v37, v0
	v_add_f32_e32 v37, v7, v29
	v_mul_f32_e32 v63, 0xbf2c7751, v73
	v_add_f32_e32 v40, v38, v1
	v_fmamk_f32 v38, v34, 0x3f3d2fb0, v61
	v_add_f32_e32 v42, v42, v39
	v_sub_f32_e32 v93, v31, v5
	v_fma_f32 v39, 0x3f3d2fb0, v37, -v54
	v_mul_f32_e32 v66, 0xbf7ee86f, v91
	v_fma_f32 v41, 0x3f3d2fb0, v36, -v63
	v_add_f32_e32 v43, v38, v0
	v_mul_f32_e32 v68, 0xbf7ee86f, v72
	v_add_f32_e32 v38, v4, v30
	v_mul_f32_e32 v53, 0xbf65296c, v93
	v_add_f32_e32 v44, v39, v40
	v_sub_f32_e32 v80, v30, v4
	v_fmamk_f32 v40, v35, 0x3dbcf732, v66
	v_sub_f32_e32 v95, v17, v11
	v_add_f32_e32 v41, v41, v1
	v_fma_f32 v45, 0x3dbcf732, v37, -v68
	v_fmamk_f32 v46, v38, 0x3ee437d1, v53
	v_add_f32_e32 v39, v5, v31
	v_mul_f32_e32 v55, 0xbf65296c, v80
	v_add_f32_e32 v43, v40, v43
	v_mul_f32_e32 v71, 0xbf4c4adb, v80
	;; [unrolled: 2-line block ×3, first 2 shown]
	v_add_f32_e32 v45, v45, v41
	v_add_f32_e32 v42, v46, v42
	v_fma_f32 v41, 0x3ee437d1, v39, -v55
	v_mul_f32_e32 v70, 0xbf4c4adb, v93
	v_sub_f32_e32 v88, v16, v10
	v_fma_f32 v47, 0xbf1a4643, v39, -v71
	v_fmamk_f32 v48, v40, 0x3dbcf732, v56
	v_sub_f32_e32 v97, v19, v9
	v_add_f32_e32 v44, v41, v44
	v_fmamk_f32 v46, v38, 0xbf1a4643, v70
	v_add_f32_e32 v41, v11, v17
	v_mul_f32_e32 v57, 0xbf7ee86f, v88
	v_add_f32_e32 v45, v47, v45
	v_add_f32_e32 v47, v48, v42
	v_mul_f32_e32 v74, 0xbe3c28d5, v95
	v_mul_f32_e32 v75, 0xbe3c28d5, v88
	v_add_f32_e32 v42, v8, v18
	v_mul_f32_e32 v58, 0xbf763a35, v97
	v_sub_f32_e32 v92, v18, v8
	v_add_f32_e32 v46, v46, v43
	v_fma_f32 v48, 0x3dbcf732, v41, -v57
	v_fmamk_f32 v49, v40, 0xbf7ba420, v74
	v_fma_f32 v60, 0xbf7ba420, v41, -v75
	v_add_f32_e32 v43, v9, v19
	v_fmamk_f32 v62, v42, 0xbe8c1d8e, v58
	v_mul_f32_e32 v59, 0xbf763a35, v92
	v_sub_f32_e32 v98, v25, v15
	v_sub_f32_e32 v94, v24, v14
	v_add_f32_e32 v48, v48, v44
	v_add_f32_e32 v46, v49, v46
	;; [unrolled: 1-line block ×4, first 2 shown]
	v_fma_f32 v64, 0xbe8c1d8e, v43, -v59
	v_mul_f32_e32 v77, 0x3f06c442, v97
	v_mul_f32_e32 v78, 0x3f06c442, v92
	v_add_f32_e32 v44, v14, v24
	v_mul_f32_e32 v60, 0xbf4c4adb, v98
	v_add_f32_e32 v45, v15, v25
	v_mul_f32_e32 v62, 0xbf4c4adb, v94
	v_fmamk_f32 v65, v42, 0xbf59a7d5, v77
	v_fma_f32 v67, 0xbf59a7d5, v43, -v78
	v_fmamk_f32 v69, v44, 0xbf1a4643, v60
	v_add_f32_e32 v48, v64, v48
	v_fma_f32 v64, 0xbf1a4643, v45, -v62
	v_mul_f32_e32 v79, 0x3f763a35, v98
	v_sub_f32_e32 v100, v27, v13
	v_sub_f32_e32 v96, v26, v12
	v_add_f32_e32 v76, v65, v46
	v_add_f32_e32 v49, v67, v49
	;; [unrolled: 1-line block ×4, first 2 shown]
	v_mul_f32_e32 v86, 0x3f763a35, v94
	v_fmamk_f32 v69, v44, 0xbe8c1d8e, v79
	v_add_f32_e32 v46, v12, v26
	v_mul_f32_e32 v64, 0xbf06c442, v100
	v_add_f32_e32 v47, v13, v27
	v_mul_f32_e32 v65, 0xbf06c442, v96
	v_mul_f32_e32 v81, 0x3f65296c, v100
	v_fma_f32 v82, 0xbe8c1d8e, v45, -v86
	v_fmamk_f32 v83, v46, 0xbf59a7d5, v64
	v_add_f32_e32 v69, v69, v76
	v_fma_f32 v76, 0xbf59a7d5, v47, -v65
	v_fmamk_f32 v84, v46, 0x3ee437d1, v81
	v_mul_f32_e32 v89, 0x3f65296c, v96
	v_sub_f32_e32 v101, v21, v23
	v_sub_f32_e32 v99, v20, v22
	v_add_f32_e32 v82, v82, v49
	v_add_f32_e32 v83, v83, v67
	;; [unrolled: 1-line block ×4, first 2 shown]
	v_fma_f32 v84, 0x3ee437d1, v47, -v89
	v_add_f32_e32 v48, v22, v20
	v_add_f32_e32 v49, v23, v21
	v_mul_f32_e32 v67, 0xbe3c28d5, v101
	v_mul_f32_e32 v69, 0xbe3c28d5, v99
	;; [unrolled: 1-line block ×4, first 2 shown]
	v_add_f32_e32 v103, v84, v82
	v_fmamk_f32 v82, v48, 0xbf7ba420, v67
	v_fma_f32 v104, 0xbf7ba420, v49, -v69
	v_fmamk_f32 v105, v48, 0x3f6eb680, v76
	v_fma_f32 v106, 0x3f6eb680, v49, -v90
	v_add_f32_e32 v84, v82, v83
	v_add_f32_e32 v85, v104, v85
	;; [unrolled: 1-line block ×4, first 2 shown]
	s_barrier
	buffer_gl0_inv
	s_and_saveexec_b32 s4, vcc_lo
	s_cbranch_execz .LBB0_7
; %bb.6:
	v_add_f32_e32 v3, v3, v1
	v_add_f32_e32 v2, v2, v0
	v_mul_f32_e32 v104, 0x3ee437d1, v36
	v_mul_f32_e32 v103, 0xbf1a4643, v37
	;; [unrolled: 1-line block ×3, first 2 shown]
	v_add_f32_e32 v3, v29, v3
	v_add_f32_e32 v2, v28, v2
	v_mul_f32_e32 v105, 0xbf65296c, v87
	v_mul_f32_e32 v29, 0xbe8c1d8e, v41
	v_fmamk_f32 v107, v80, 0xbe3c28d5, v102
	v_add_f32_e32 v3, v31, v3
	v_add_f32_e32 v2, v30, v2
	v_mul_f32_e32 v31, 0xbf4c4adb, v91
	v_mul_f32_e32 v28, 0x3f3d2fb0, v43
	;; [unrolled: 1-line block ×3, first 2 shown]
	v_add_f32_e32 v3, v17, v3
	v_add_f32_e32 v2, v16, v2
	v_fmamk_f32 v16, v73, 0x3f65296c, v104
	v_fmamk_f32 v17, v72, 0x3f4c4adb, v103
	v_mul_f32_e32 v106, 0x3f763a35, v95
	v_add_f32_e32 v3, v19, v3
	v_add_f32_e32 v2, v18, v2
	;; [unrolled: 1-line block ×3, first 2 shown]
	v_fmamk_f32 v18, v34, 0x3ee437d1, v105
	v_fmamk_f32 v19, v88, 0xbf763a35, v29
	v_add_f32_e32 v3, v25, v3
	v_add_f32_e32 v2, v24, v2
	;; [unrolled: 1-line block ×3, first 2 shown]
	v_fmamk_f32 v17, v35, 0xbf1a4643, v31
	v_add_f32_e32 v18, v18, v0
	v_add_f32_e32 v3, v27, v3
	;; [unrolled: 1-line block ×4, first 2 shown]
	v_fmamk_f32 v24, v92, 0xbf2c7751, v28
	v_fmamk_f32 v25, v38, 0xbf7ba420, v30
	v_add_f32_e32 v3, v21, v3
	v_add_f32_e32 v2, v20, v2
	;; [unrolled: 1-line block ×4, first 2 shown]
	v_mul_f32_e32 v20, 0x3f6eb680, v45
	v_add_f32_e32 v3, v23, v3
	v_add_f32_e32 v2, v22, v2
	;; [unrolled: 1-line block ×4, first 2 shown]
	v_fmamk_f32 v18, v40, 0xbe8c1d8e, v106
	v_add_f32_e32 v3, v13, v3
	v_fmamk_f32 v19, v94, 0x3eb8f4ab, v20
	v_mul_f32_e32 v23, 0x3f2c7751, v97
	v_add_f32_e32 v2, v12, v2
	v_add_f32_e32 v12, v18, v17
	;; [unrolled: 1-line block ×3, first 2 shown]
	v_mul_f32_e32 v22, 0x3dbcf732, v47
	v_fmamk_f32 v13, v42, 0x3f3d2fb0, v23
	v_mul_f32_e32 v24, 0xbeb8f4ab, v98
	v_add_f32_e32 v2, v14, v2
	v_add_f32_e32 v14, v19, v16
	v_add_f32_e32 v3, v9, v3
	v_mul_f32_e32 v16, 0xbf1a4643, v36
	v_fmamk_f32 v15, v96, 0x3f7ee86f, v22
	v_add_f32_e32 v12, v13, v12
	v_fmamk_f32 v13, v44, 0x3f6eb680, v24
	v_mul_f32_e32 v25, 0xbf7ee86f, v100
	v_add_f32_e32 v2, v8, v2
	v_add_f32_e32 v19, v11, v3
	v_fmamk_f32 v3, v73, 0x3f4c4adb, v16
	v_mul_f32_e32 v17, 0xbe8c1d8e, v37
	v_add_f32_e32 v8, v13, v12
	v_fmamk_f32 v9, v46, 0x3dbcf732, v25
	v_add_f32_e32 v18, v10, v2
	v_add_f32_e32 v2, v15, v14
	;; [unrolled: 1-line block ×3, first 2 shown]
	v_fmamk_f32 v10, v72, 0xbf763a35, v17
	v_mul_f32_e32 v14, 0x3f6eb680, v39
	v_mul_f32_e32 v15, 0xbf4c4adb, v87
	v_add_f32_e32 v8, v9, v8
	v_mul_f32_e32 v115, 0xbf59a7d5, v41
	v_add_f32_e32 v3, v10, v3
	v_fmamk_f32 v9, v80, 0x3eb8f4ab, v14
	v_fmamk_f32 v12, v34, 0xbf1a4643, v15
	v_mul_f32_e32 v116, 0x3f763a35, v91
	v_mul_f32_e32 v117, 0x3dbcf732, v43
	;; [unrolled: 1-line block ×3, first 2 shown]
	v_add_f32_e32 v3, v9, v3
	v_fmamk_f32 v9, v88, 0x3f06c442, v115
	v_add_f32_e32 v12, v12, v0
	v_fmamk_f32 v13, v35, 0xbe8c1d8e, v116
	v_mul_f32_e32 v21, 0xbf59a7d5, v49
	v_mul_f32_e32 v119, 0x3f3d2fb0, v45
	v_add_f32_e32 v3, v9, v3
	v_fmamk_f32 v9, v92, 0xbf7ee86f, v117
	v_add_f32_e32 v12, v13, v12
	v_fmamk_f32 v13, v38, 0x3f6eb680, v118
	v_mul_f32_e32 v120, 0xbf06c442, v95
	v_mul_f32_e32 v26, 0xbf06c442, v101
	v_fmamk_f32 v11, v99, 0x3f06c442, v21
	v_add_f32_e32 v9, v9, v3
	v_fmamk_f32 v27, v94, 0x3f2c7751, v119
	v_mul_f32_e32 v121, 0xbf7ba420, v47
	v_add_f32_e32 v12, v13, v12
	v_fmamk_f32 v13, v40, 0xbf59a7d5, v120
	v_mul_f32_e32 v122, 0x3f7ee86f, v97
	v_fmamk_f32 v10, v48, 0xbf59a7d5, v26
	v_add_f32_e32 v3, v11, v2
	v_add_f32_e32 v9, v27, v9
	v_fmamk_f32 v11, v96, 0x3e3c28d5, v121
	v_add_f32_e32 v12, v13, v12
	v_fmamk_f32 v13, v42, 0x3dbcf732, v122
	v_mul_f32_e32 v123, 0xbf2c7751, v98
	v_add_f32_e32 v2, v10, v8
	v_add_f32_e32 v8, v11, v9
	v_mul_f32_e32 v10, 0xbf7ba420, v36
	v_add_f32_e32 v9, v13, v12
	v_fmamk_f32 v11, v44, 0x3f3d2fb0, v123
	v_mul_f32_e32 v125, 0xbe3c28d5, v100
	v_mul_f32_e32 v126, 0x3ee437d1, v49
	v_fmamk_f32 v12, v73, 0x3e3c28d5, v10
	v_mul_f32_e32 v13, 0x3f6eb680, v37
	v_add_f32_e32 v9, v11, v9
	v_fmamk_f32 v11, v46, 0xbf7ba420, v125
	v_fmamk_f32 v27, v99, 0xbf65296c, v126
	v_add_f32_e32 v12, v12, v1
	v_fmamk_f32 v107, v72, 0xbeb8f4ab, v13
	v_mul_f32_e32 v108, 0xbf59a7d5, v39
	v_add_f32_e32 v11, v11, v9
	v_add_f32_e32 v9, v27, v8
	v_mul_f32_e32 v27, 0xbe3c28d5, v87
	v_add_f32_e32 v8, v107, v12
	v_fmamk_f32 v12, v80, 0x3f06c442, v108
	v_mul_f32_e32 v107, 0x3f3d2fb0, v41
	v_mul_f32_e32 v110, 0x3eb8f4ab, v91
	v_fmamk_f32 v109, v34, 0xbf7ba420, v27
	v_mul_f32_e32 v111, 0xbf1a4643, v43
	v_add_f32_e32 v8, v12, v8
	v_fmamk_f32 v12, v88, 0xbf2c7751, v107
	v_fmamk_f32 v112, v35, 0x3f6eb680, v110
	v_add_f32_e32 v109, v109, v0
	v_mul_f32_e32 v113, 0xbf06c442, v93
	v_mul_f32_e32 v114, 0x3ee437d1, v45
	v_add_f32_e32 v8, v12, v8
	v_fmamk_f32 v12, v92, 0x3f4c4adb, v111
	v_add_f32_e32 v109, v112, v109
	v_fmamk_f32 v112, v38, 0xbf59a7d5, v113
	v_mul_f32_e32 v130, 0x3f2c7751, v95
	v_mul_f32_e32 v129, 0x3f65296c, v101
	v_add_f32_e32 v8, v12, v8
	v_fmamk_f32 v12, v94, 0xbf65296c, v114
	v_mul_f32_e32 v131, 0xbe8c1d8e, v47
	v_add_f32_e32 v109, v112, v109
	v_fmamk_f32 v112, v40, 0x3f3d2fb0, v130
	v_mul_f32_e32 v132, 0xbf4c4adb, v97
	v_fmamk_f32 v133, v48, 0x3ee437d1, v129
	v_add_f32_e32 v12, v12, v8
	v_fmamk_f32 v134, v96, 0x3f763a35, v131
	v_add_f32_e32 v109, v112, v109
	v_fmamk_f32 v112, v42, 0xbf1a4643, v132
	v_mul_f32_e32 v135, 0x3f65296c, v98
	v_fmac_f32_e32 v10, 0xbe3c28d5, v73
	v_add_f32_e32 v8, v133, v11
	v_add_f32_e32 v11, v134, v12
	v_add_f32_e32 v12, v112, v109
	v_fmamk_f32 v109, v44, 0x3ee437d1, v135
	v_mul_f32_e32 v112, 0xbf763a35, v100
	v_fma_f32 v27, 0xbf7ba420, v34, -v27
	v_add_f32_e32 v10, v10, v1
	v_fmac_f32_e32 v13, 0x3eb8f4ab, v72
	v_add_f32_e32 v12, v109, v12
	v_fmamk_f32 v109, v46, 0xbe8c1d8e, v112
	v_add_f32_e32 v27, v27, v0
	v_fma_f32 v110, 0x3f6eb680, v35, -v110
	v_add_f32_e32 v10, v13, v10
	v_fmac_f32_e32 v108, 0xbf06c442, v80
	v_add_f32_e32 v12, v109, v12
	v_mul_f32_e32 v13, 0x3dbcf732, v49
	v_add_f32_e32 v27, v110, v27
	v_fma_f32 v109, 0xbf59a7d5, v38, -v113
	v_add_f32_e32 v10, v108, v10
	v_fmac_f32_e32 v107, 0x3f2c7751, v88
	v_fmamk_f32 v108, v99, 0xbf7ee86f, v13
	v_mul_f32_e32 v110, 0x3f7ee86f, v101
	v_add_f32_e32 v27, v109, v27
	v_fma_f32 v109, 0x3f3d2fb0, v40, -v130
	v_add_f32_e32 v10, v107, v10
	v_fmac_f32_e32 v111, 0xbf4c4adb, v92
	v_add_f32_e32 v11, v108, v11
	v_fmamk_f32 v107, v48, 0x3dbcf732, v110
	v_add_f32_e32 v27, v109, v27
	v_fma_f32 v108, 0xbf1a4643, v42, -v132
	v_add_f32_e32 v109, v111, v10
	v_fmac_f32_e32 v114, 0x3f65296c, v94
	v_mul_f32_e32 v130, 0xbf06c442, v73
	v_add_f32_e32 v10, v107, v12
	v_add_f32_e32 v12, v108, v27
	v_fma_f32 v27, 0x3ee437d1, v44, -v135
	v_add_f32_e32 v107, v114, v109
	v_fmac_f32_e32 v131, 0xbf763a35, v96
	v_fmamk_f32 v108, v36, 0xbf59a7d5, v130
	v_mul_f32_e32 v132, 0x3f65296c, v72
	v_add_f32_e32 v12, v27, v12
	v_fma_f32 v27, 0xbe8c1d8e, v46, -v112
	v_add_f32_e32 v113, v131, v107
	v_add_f32_e32 v107, v108, v1
	v_fmamk_f32 v108, v37, 0x3ee437d1, v132
	v_mul_f32_e32 v131, 0xbf7ee86f, v80
	v_mul_f32_e32 v133, 0xbf06c442, v87
	v_add_f32_e32 v12, v27, v12
	v_mul_f32_e32 v134, 0x3f4c4adb, v88
	v_add_f32_e32 v27, v108, v107
	v_fmamk_f32 v107, v39, 0x3dbcf732, v131
	v_fma_f32 v114, 0x3dbcf732, v48, -v110
	v_fma_f32 v110, 0xbf59a7d5, v34, -v133
	v_mul_f32_e32 v108, 0x3f65296c, v91
	v_mul_f32_e32 v109, 0xbeb8f4ab, v92
	v_add_f32_e32 v27, v107, v27
	v_fmamk_f32 v107, v41, 0xbf1a4643, v134
	v_add_f32_e32 v111, v110, v0
	v_fma_f32 v112, 0x3ee437d1, v35, -v108
	v_mul_f32_e32 v110, 0xbf7ee86f, v93
	v_fmamk_f32 v135, v43, 0x3f6eb680, v109
	v_add_f32_e32 v27, v107, v27
	v_mul_f32_e32 v107, 0xbe3c28d5, v94
	v_add_f32_e32 v112, v112, v111
	v_fma_f32 v136, 0x3dbcf732, v38, -v110
	v_mul_f32_e32 v111, 0x3f4c4adb, v95
	v_fmac_f32_e32 v13, 0x3f7ee86f, v99
	v_add_f32_e32 v135, v135, v27
	v_fmamk_f32 v137, v45, 0xbf7ba420, v107
	v_mul_f32_e32 v27, 0x3f2c7751, v96
	v_add_f32_e32 v136, v136, v112
	v_fma_f32 v138, 0xbf1a4643, v40, -v111
	v_mul_f32_e32 v112, 0xbeb8f4ab, v97
	v_add_f32_e32 v13, v13, v113
	v_add_f32_e32 v135, v137, v135
	v_fmamk_f32 v137, v47, 0x3f3d2fb0, v27
	v_add_f32_e32 v136, v138, v136
	v_fma_f32 v138, 0x3f6eb680, v42, -v112
	v_mul_f32_e32 v113, 0xbe3c28d5, v98
	v_fmac_f32_e32 v16, 0xbf4c4adb, v73
	v_add_f32_e32 v12, v114, v12
	v_add_f32_e32 v135, v137, v135
	;; [unrolled: 1-line block ×3, first 2 shown]
	v_fma_f32 v137, 0xbf7ba420, v44, -v113
	v_mul_f32_e32 v114, 0x3f2c7751, v100
	v_fma_f32 v15, 0xbf1a4643, v34, -v15
	v_add_f32_e32 v16, v16, v1
	v_fmac_f32_e32 v17, 0x3f763a35, v72
	v_add_f32_e32 v136, v137, v136
	v_fma_f32 v137, 0x3f3d2fb0, v46, -v114
	v_add_f32_e32 v15, v15, v0
	v_fma_f32 v116, 0xbe8c1d8e, v35, -v116
	v_add_f32_e32 v16, v17, v16
	v_fmac_f32_e32 v14, 0xbeb8f4ab, v80
	v_add_f32_e32 v17, v137, v136
	v_mul_f32_e32 v136, 0xbf763a35, v99
	v_add_f32_e32 v15, v116, v15
	v_fma_f32 v116, 0x3f6eb680, v38, -v118
	v_add_f32_e32 v14, v14, v16
	v_fmac_f32_e32 v115, 0xbf06c442, v88
	v_fmamk_f32 v16, v49, 0xbe8c1d8e, v136
	v_mul_f32_e32 v118, 0xbf763a35, v101
	v_add_f32_e32 v116, v116, v15
	v_fma_f32 v120, 0xbf59a7d5, v40, -v120
	v_add_f32_e32 v14, v115, v14
	v_fmac_f32_e32 v117, 0x3f7ee86f, v92
	v_add_f32_e32 v15, v16, v135
	v_fma_f32 v16, 0xbe8c1d8e, v48, -v118
	v_add_f32_e32 v115, v120, v116
	v_fma_f32 v116, 0x3dbcf732, v42, -v122
	v_add_f32_e32 v117, v117, v14
	v_fmac_f32_e32 v119, 0xbf2c7751, v94
	v_mul_f32_e32 v120, 0xbf763a35, v73
	v_add_f32_e32 v14, v16, v17
	v_add_f32_e32 v16, v116, v115
	v_fma_f32 v17, 0x3f3d2fb0, v44, -v123
	v_add_f32_e32 v115, v119, v117
	v_fmac_f32_e32 v121, 0xbe3c28d5, v96
	v_fmamk_f32 v116, v36, 0xbe8c1d8e, v120
	v_mul_f32_e32 v117, 0x3f06c442, v72
	v_add_f32_e32 v16, v17, v16
	v_fma_f32 v17, 0xbf7ba420, v46, -v125
	v_add_f32_e32 v115, v121, v115
	v_add_f32_e32 v116, v116, v1
	v_fmamk_f32 v119, v37, 0xbf59a7d5, v117
	v_mul_f32_e32 v121, 0x3f2c7751, v80
	v_mul_f32_e32 v122, 0xbf763a35, v87
	v_add_f32_e32 v16, v17, v16
	v_fma_f32 v123, 0x3ee437d1, v48, -v129
	v_add_f32_e32 v17, v119, v116
	v_fmamk_f32 v116, v39, 0x3f3d2fb0, v121
	v_mul_f32_e32 v119, 0xbf65296c, v88
	v_fma_f32 v125, 0xbe8c1d8e, v34, -v122
	v_mul_f32_e32 v129, 0x3f06c442, v91
	v_mul_f32_e32 v135, 0xbe3c28d5, v92
	v_add_f32_e32 v17, v116, v17
	v_fmamk_f32 v116, v41, 0x3ee437d1, v119
	v_add_f32_e32 v125, v125, v0
	v_fma_f32 v137, 0xbf59a7d5, v35, -v129
	v_mul_f32_e32 v138, 0x3f2c7751, v93
	v_mul_f32_e32 v139, 0x3f7ee86f, v94
	v_add_f32_e32 v17, v116, v17
	v_fmamk_f32 v116, v43, 0xbf7ba420, v135
	v_add_f32_e32 v125, v137, v125
	v_fma_f32 v137, 0x3f3d2fb0, v38, -v138
	v_mul_f32_e32 v140, 0xbf65296c, v95
	v_fmac_f32_e32 v126, 0x3f65296c, v99
	v_add_f32_e32 v116, v116, v17
	v_fmamk_f32 v141, v45, 0x3dbcf732, v139
	v_mul_f32_e32 v142, 0xbeb8f4ab, v96
	v_add_f32_e32 v125, v137, v125
	v_fma_f32 v137, 0x3ee437d1, v40, -v140
	v_mul_f32_e32 v143, 0xbe3c28d5, v97
	v_add_f32_e32 v17, v126, v115
	v_add_f32_e32 v115, v141, v116
	v_fmamk_f32 v116, v47, 0x3f6eb680, v142
	v_add_f32_e32 v125, v137, v125
	v_fma_f32 v126, 0xbf7ba420, v42, -v143
	v_mul_f32_e32 v137, 0x3f7ee86f, v98
	v_add_f32_e32 v16, v123, v16
	v_mul_f32_e32 v123, 0xbf7ee86f, v73
	v_add_f32_e32 v115, v116, v115
	v_add_f32_e32 v116, v126, v125
	v_fma_f32 v125, 0x3dbcf732, v44, -v137
	v_mul_f32_e32 v126, 0xbeb8f4ab, v100
	v_mul_f32_e32 v141, 0xbf4c4adb, v99
	v_fmamk_f32 v144, v36, 0x3dbcf732, v123
	v_mul_f32_e32 v145, 0xbe3c28d5, v72
	v_fmac_f32_e32 v104, 0xbf65296c, v73
	v_add_f32_e32 v116, v125, v116
	v_fma_f32 v125, 0x3f6eb680, v46, -v126
	v_fmamk_f32 v146, v49, 0xbf1a4643, v141
	v_add_f32_e32 v144, v144, v1
	v_fmamk_f32 v147, v37, 0xbf7ba420, v145
	v_mul_f32_e32 v148, 0x3f763a35, v80
	v_mul_f32_e32 v87, 0xbf7ee86f, v87
	;; [unrolled: 1-line block ×3, first 2 shown]
	v_fma_f32 v98, 0x3ee437d1, v34, -v105
	v_fmac_f32_e32 v103, 0xbf4c4adb, v72
	v_add_f32_e32 v72, v104, v1
	v_add_f32_e32 v125, v125, v116
	;; [unrolled: 1-line block ×4, first 2 shown]
	v_fmamk_f32 v144, v39, 0xbe8c1d8e, v148
	v_mul_f32_e32 v146, 0x3eb8f4ab, v88
	v_fma_f32 v149, 0x3dbcf732, v34, -v87
	v_mul_f32_e32 v91, 0xbe3c28d5, v91
	v_add_f32_e32 v98, v98, v0
	v_fma_f32 v31, 0xbf1a4643, v35, -v31
	v_add_f32_e32 v72, v103, v72
	v_fmac_f32_e32 v102, 0x3e3c28d5, v80
	v_add_f32_e32 v115, v144, v115
	v_fmamk_f32 v144, v41, 0x3f6eb680, v146
	v_mul_f32_e32 v150, 0xbf65296c, v92
	v_add_f32_e32 v149, v149, v0
	v_fma_f32 v151, 0xbf7ba420, v35, -v91
	v_mul_f32_e32 v93, 0x3f763a35, v93
	v_add_f32_e32 v31, v31, v98
	v_fma_f32 v30, 0xbf7ba420, v38, -v30
	v_add_f32_e32 v72, v102, v72
	v_fmac_f32_e32 v29, 0x3f763a35, v88
	v_mul_f32_e32 v147, 0xbf4c4adb, v101
	v_add_f32_e32 v115, v144, v115
	v_fmamk_f32 v144, v43, 0x3ee437d1, v150
	v_mul_f32_e32 v152, 0xbf06c442, v94
	v_add_f32_e32 v149, v151, v149
	v_fma_f32 v151, 0xbe8c1d8e, v38, -v93
	v_mul_f32_e32 v95, 0x3eb8f4ab, v95
	v_add_f32_e32 v30, v30, v31
	v_fma_f32 v31, 0xbe8c1d8e, v40, -v106
	v_add_f32_e32 v29, v29, v72
	v_fmac_f32_e32 v28, 0x3f2c7751, v92
	v_fma_f32 v153, 0xbf1a4643, v48, -v147
	v_add_f32_e32 v144, v144, v115
	v_fmamk_f32 v154, v45, 0xbf59a7d5, v152
	v_add_f32_e32 v149, v151, v149
	v_fma_f32 v151, 0x3f6eb680, v40, -v95
	v_mul_f32_e32 v155, 0x3f4c4adb, v96
	v_add_f32_e32 v30, v31, v30
	v_fma_f32 v23, 0x3f3d2fb0, v42, -v23
	v_add_f32_e32 v28, v28, v29
	v_fmac_f32_e32 v20, 0xbeb8f4ab, v94
	v_add_f32_e32 v115, v153, v125
	v_add_f32_e32 v125, v154, v144
	v_add_f32_e32 v144, v151, v149
	v_fmamk_f32 v151, v47, 0xbf1a4643, v155
	v_mul_f32_e32 v72, 0x3f2c7751, v99
	v_add_f32_e32 v23, v23, v30
	v_fma_f32 v30, 0x3f6eb680, v44, -v24
	v_add_f32_e32 v20, v20, v28
	v_fmac_f32_e32 v22, 0xbf7ee86f, v96
	v_add_f32_e32 v88, v151, v125
	v_fmamk_f32 v29, v49, 0x3f3d2fb0, v72
	v_add_f32_e32 v28, v30, v23
	v_fma_f32 v25, 0x3dbcf732, v46, -v25
	v_add_f32_e32 v20, v22, v20
	v_mul_f32_e32 v22, 0x3f3d2fb0, v36
	v_add_f32_e32 v24, v29, v88
	v_fmac_f32_e32 v21, 0xbf06c442, v99
	v_add_f32_e32 v25, v25, v28
	v_mul_f32_e32 v28, 0x3f3d2fb0, v34
	v_mul_f32_e32 v29, 0x3dbcf732, v37
	v_add_f32_e32 v22, v63, v22
	v_add_f32_e32 v21, v21, v20
	v_mul_f32_e32 v20, 0x3dbcf732, v35
	v_sub_f32_e32 v28, v28, v61
	v_add_f32_e32 v29, v68, v29
	v_add_f32_e32 v22, v22, v1
	v_mul_f32_e32 v30, 0xbf1a4643, v39
	v_sub_f32_e32 v20, v20, v66
	v_add_f32_e32 v28, v28, v0
	v_mul_f32_e32 v61, 0xbf1a4643, v38
	v_add_f32_e32 v22, v29, v22
	v_add_f32_e32 v29, v71, v30
	v_mul_f32_e32 v30, 0xbf7ba420, v41
	v_add_f32_e32 v20, v20, v28
	v_sub_f32_e32 v28, v61, v70
	v_mul_f32_e32 v61, 0xbf7ba420, v40
	v_add_f32_e32 v22, v29, v22
	v_add_f32_e32 v29, v75, v30
	v_mul_f32_e32 v30, 0xbf59a7d5, v43
	v_add_f32_e32 v20, v28, v20
	v_sub_f32_e32 v28, v61, v74
	v_mul_f32_e32 v61, 0xbf59a7d5, v42
	v_add_f32_e32 v22, v29, v22
	v_add_f32_e32 v29, v78, v30
	v_mul_f32_e32 v30, 0xbe8c1d8e, v45
	v_fma_f32 v26, 0xbf59a7d5, v48, -v26
	v_add_f32_e32 v20, v28, v20
	v_sub_f32_e32 v28, v61, v77
	v_mul_f32_e32 v61, 0xbe8c1d8e, v44
	v_add_f32_e32 v22, v29, v22
	v_add_f32_e32 v29, v86, v30
	v_mul_f32_e32 v30, 0x3ee437d1, v47
	v_add_f32_e32 v28, v28, v20
	v_sub_f32_e32 v61, v61, v79
	v_add_f32_e32 v20, v26, v25
	v_add_f32_e32 v22, v29, v22
	v_mul_f32_e32 v25, 0x3ee437d1, v46
	v_add_f32_e32 v26, v89, v30
	v_mul_f32_e32 v29, 0x3f6eb680, v36
	v_mul_f32_e32 v30, 0x3f6eb680, v49
	v_add_f32_e32 v28, v61, v28
	v_sub_f32_e32 v25, v25, v81
	v_mul_f32_e32 v61, 0x3f3d2fb0, v37
	v_add_f32_e32 v22, v26, v22
	v_add_f32_e32 v26, v52, v29
	;; [unrolled: 1-line block ×3, first 2 shown]
	v_mul_f32_e32 v30, 0x3f6eb680, v34
	v_add_f32_e32 v25, v25, v28
	v_add_f32_e32 v28, v54, v61
	;; [unrolled: 1-line block ×3, first 2 shown]
	v_mul_f32_e32 v52, 0x3ee437d1, v39
	v_mul_f32_e32 v61, 0x3f3d2fb0, v35
	v_sub_f32_e32 v30, v30, v50
	v_mul_f32_e32 v50, 0x3dbcf732, v41
	v_add_f32_e32 v26, v28, v26
	v_add_f32_e32 v28, v55, v52
	v_sub_f32_e32 v51, v61, v51
	v_add_f32_e32 v30, v30, v0
	v_mul_f32_e32 v52, 0x3ee437d1, v38
	v_add_f32_e32 v5, v5, v19
	v_add_f32_e32 v26, v28, v26
	;; [unrolled: 1-line block ×3, first 2 shown]
	v_mul_f32_e32 v50, 0xbe8c1d8e, v43
	v_add_f32_e32 v30, v51, v30
	v_sub_f32_e32 v51, v52, v53
	v_mul_f32_e32 v52, 0x3dbcf732, v40
	v_add_f32_e32 v28, v28, v26
	v_add_f32_e32 v50, v59, v50
	;; [unrolled: 1-line block ×4, first 2 shown]
	v_sub_f32_e32 v51, v52, v56
	v_mul_f32_e32 v52, 0xbe8c1d8e, v42
	v_mul_f32_e32 v22, 0xbf1a4643, v45
	v_add_f32_e32 v28, v50, v28
	v_mul_f32_e32 v50, 0xbf1a4643, v44
	v_add_f32_e32 v29, v51, v30
	v_sub_f32_e32 v30, v52, v58
	v_add_f32_e32 v22, v62, v22
	v_mul_f32_e32 v51, 0xbf59a7d5, v47
	v_fma_f32 v52, 0x3ee437d1, v37, -v132
	v_fma_f32 v19, 0x3dbcf732, v39, -v131
	v_add_f32_e32 v29, v30, v29
	v_sub_f32_e32 v30, v50, v60
	v_fma_f32 v50, 0xbf59a7d5, v36, -v130
	v_add_f32_e32 v22, v22, v28
	v_mul_f32_e32 v28, 0xbf59a7d5, v46
	v_add_f32_e32 v51, v65, v51
	v_add_f32_e32 v29, v30, v29
	v_mul_f32_e32 v30, 0xbf7ba420, v49
	v_add_f32_e32 v50, v50, v1
	v_sub_f32_e32 v28, v28, v64
	v_add_f32_e32 v22, v51, v22
	v_fmac_f32_e32 v133, 0xbf59a7d5, v34
	v_add_f32_e32 v30, v69, v30
	v_add_f32_e32 v50, v52, v50
	;; [unrolled: 1-line block ×4, first 2 shown]
	v_fmac_f32_e32 v108, 0x3ee437d1, v35
	v_add_f32_e32 v29, v30, v22
	v_add_f32_e32 v7, v19, v50
	v_fma_f32 v19, 0xbf1a4643, v41, -v134
	v_add_f32_e32 v22, v133, v0
	v_fma_f32 v30, 0xbe8c1d8e, v36, -v120
	v_fmac_f32_e32 v110, 0x3dbcf732, v38
	v_add_f32_e32 v5, v33, v5
	v_add_f32_e32 v7, v19, v7
	;; [unrolled: 1-line block ×3, first 2 shown]
	v_fma_f32 v22, 0x3f6eb680, v43, -v109
	v_add_f32_e32 v30, v30, v1
	v_fma_f32 v33, 0xbf59a7d5, v37, -v117
	v_add_f32_e32 v4, v4, v18
	v_add_f32_e32 v18, v110, v19
	v_fmac_f32_e32 v111, 0xbf1a4643, v40
	v_add_f32_e32 v7, v22, v7
	v_add_f32_e32 v19, v33, v30
	v_fma_f32 v22, 0x3f3d2fb0, v39, -v121
	v_fma_f32 v30, 0xbf7ba420, v45, -v107
	v_add_f32_e32 v18, v111, v18
	v_fmac_f32_e32 v112, 0x3f6eb680, v42
	v_add_f32_e32 v4, v6, v4
	v_add_f32_e32 v6, v22, v19
	v_fma_f32 v19, 0x3ee437d1, v41, -v119
	v_add_f32_e32 v7, v30, v7
	v_add_f32_e32 v18, v112, v18
	v_fmac_f32_e32 v113, 0xbf7ba420, v44
	v_fma_f32 v22, 0x3f3d2fb0, v47, -v27
	v_add_f32_e32 v6, v19, v6
	v_fma_f32 v19, 0xbf7ba420, v43, -v135
	v_fmac_f32_e32 v114, 0x3f3d2fb0, v46
	v_add_f32_e32 v18, v113, v18
	v_add_f32_e32 v7, v22, v7
	v_fma_f32 v22, 0xbe8c1d8e, v49, -v136
	v_add_f32_e32 v6, v19, v6
	v_fma_f32 v19, 0x3dbcf732, v45, -v139
	v_add_f32_e32 v18, v114, v18
	v_fmac_f32_e32 v118, 0xbe8c1d8e, v48
	v_fmac_f32_e32 v122, 0xbe8c1d8e, v34
	v_add_f32_e32 v7, v22, v7
	v_fma_f32 v22, 0x3dbcf732, v36, -v123
	v_fmac_f32_e32 v87, 0x3dbcf732, v34
	v_add_f32_e32 v19, v19, v6
	v_add_f32_e32 v6, v118, v18
	;; [unrolled: 1-line block ×3, first 2 shown]
	v_fmac_f32_e32 v129, 0xbf59a7d5, v35
	v_add_f32_e32 v1, v22, v1
	v_fma_f32 v22, 0xbf7ba420, v37, -v145
	v_add_f32_e32 v0, v87, v0
	v_fmac_f32_e32 v91, 0xbf7ba420, v35
	v_add_f32_e32 v18, v129, v18
	v_fmac_f32_e32 v138, 0x3f3d2fb0, v38
	v_add_f32_e32 v1, v22, v1
	v_fma_f32 v22, 0xbe8c1d8e, v39, -v148
	v_add_f32_e32 v0, v91, v0
	v_fmac_f32_e32 v93, 0xbe8c1d8e, v38
	v_mul_f32_e32 v97, 0xbf65296c, v97
	v_add_f32_e32 v18, v138, v18
	v_fmac_f32_e32 v140, 0x3ee437d1, v40
	v_add_f32_e32 v1, v22, v1
	v_fma_f32 v22, 0x3f6eb680, v41, -v146
	v_add_f32_e32 v0, v93, v0
	v_fmac_f32_e32 v95, 0x3f6eb680, v40
	v_fma_f32 v149, 0x3ee437d1, v42, -v97
	v_add_f32_e32 v18, v140, v18
	v_fmac_f32_e32 v143, 0xbf7ba420, v42
	v_add_f32_e32 v1, v22, v1
	v_fma_f32 v22, 0x3ee437d1, v43, -v150
	v_add_f32_e32 v0, v95, v0
	v_fmac_f32_e32 v97, 0x3ee437d1, v42
	v_add_f32_e32 v105, v149, v144
	v_fma_f32 v104, 0xbf59a7d5, v44, -v73
	v_mul_f32_e32 v100, 0x3f4c4adb, v100
	v_mul_f32_e32 v51, 0xbf7ba420, v48
	v_add_f32_e32 v18, v143, v18
	v_fmac_f32_e32 v137, 0x3dbcf732, v44
	v_add_f32_e32 v1, v22, v1
	v_fma_f32 v22, 0xbf59a7d5, v45, -v152
	v_add_f32_e32 v0, v97, v0
	v_fmac_f32_e32 v73, 0xbf59a7d5, v44
	v_mul_f32_e32 v54, 0x3f6eb680, v48
	v_add_f32_e32 v80, v104, v105
	v_fma_f32 v98, 0xbf1a4643, v46, -v100
	v_mul_f32_e32 v31, 0x3f2c7751, v101
	v_sub_f32_e32 v51, v51, v67
	v_add_f32_e32 v4, v32, v4
	v_fma_f32 v27, 0x3f6eb680, v47, -v142
	v_add_f32_e32 v18, v137, v18
	v_fmac_f32_e32 v126, 0x3f6eb680, v46
	v_add_f32_e32 v1, v22, v1
	v_fma_f32 v22, 0xbf1a4643, v47, -v155
	v_add_f32_e32 v0, v73, v0
	v_fmac_f32_e32 v100, 0xbf1a4643, v46
	v_mul_lo_u16 v30, v128, 17
	v_mov_b32_e32 v32, 3
	v_sub_f32_e32 v53, v54, v76
	v_add_f32_e32 v80, v98, v80
	v_fma_f32 v92, 0x3f3d2fb0, v48, -v31
	v_add_f32_e32 v28, v51, v28
	v_add_f32_e32 v19, v27, v19
	v_fma_f32 v27, 0xbf1a4643, v49, -v141
	v_add_f32_e32 v18, v126, v18
	v_fmac_f32_e32 v147, 0xbf1a4643, v48
	v_add_f32_e32 v22, v22, v1
	v_fma_f32 v33, 0x3f3d2fb0, v49, -v72
	v_add_f32_e32 v34, v100, v0
	v_fmac_f32_e32 v31, 0x3f3d2fb0, v48
	v_lshlrev_b32_sdwa v30, v32, v30 dst_sel:DWORD dst_unused:UNUSED_PAD src0_sel:DWORD src1_sel:WORD_0
	v_add_f32_e32 v25, v53, v25
	v_add_f32_e32 v23, v92, v80
	;; [unrolled: 1-line block ×6, first 2 shown]
	ds_write2_b64 v30, v[4:5], v[28:29] offset1:1
	ds_write2_b64 v30, v[25:26], v[20:21] offset0:2 offset1:3
	ds_write2_b64 v30, v[23:24], v[115:116] offset0:4 offset1:5
	;; [unrolled: 1-line block ×7, first 2 shown]
	ds_write_b64 v30, v[84:85] offset:128
.LBB0_7:
	s_or_b32 exec_lo, exec_lo, s4
	v_and_b32_e32 v14, 0xff, v128
	v_add_co_u32 v12, null, 0xee, v128
	v_mov_b32_e32 v1, 0xf0f1
	v_add_co_u32 v4, null, 0x1dc, v128
	v_mul_lo_u16 v0, 0xf1, v14
	v_add_nc_u16 v54, v128, 0x77
	v_mul_u32_u24_sdwa v2, v12, v1 dst_sel:DWORD dst_unused:UNUSED_PAD src0_sel:WORD_0 src1_sel:DWORD
	v_mov_b32_e32 v13, 3
	s_load_dwordx4 s[4:7], s[0:1], 0x0
	v_lshrrev_b16 v52, 12, v0
	v_add_co_u32 v0, null, 0x165, v128
	v_lshrrev_b32_e32 v53, 20, v2
	v_and_b32_e32 v18, 0xff, v54
	v_mul_lo_u16 v3, v52, 17
	v_mul_u32_u24_sdwa v5, v0, v1 dst_sel:DWORD dst_unused:UNUSED_PAD src0_sel:WORD_0 src1_sel:DWORD
	v_mul_u32_u24_sdwa v1, v4, v1 dst_sel:DWORD dst_unused:UNUSED_PAD src0_sel:WORD_0 src1_sel:DWORD
	s_waitcnt lgkmcnt(0)
	s_barrier
	v_sub_nc_u16 v2, v128, v3
	v_lshrrev_b32_e32 v55, 20, v5
	v_mul_lo_u16 v3, v53, 17
	v_lshrrev_b32_e32 v57, 20, v1
	buffer_gl0_inv
	v_and_b32_e32 v56, 0xff, v2
	v_mul_lo_u16 v1, v55, 17
	v_sub_nc_u16 v58, v12, v3
	v_mul_lo_u16 v2, 0xf1, v18
	v_mul_lo_u16 v5, v57, 17
	v_lshlrev_b32_e32 v3, 4, v56
	v_sub_nc_u16 v59, v0, v1
	v_lshlrev_b16 v0, 1, v58
	v_lshrrev_b16 v60, 12, v2
	v_sub_nc_u16 v61, v4, v5
	global_load_dwordx4 v[24:27], v3, s[2:3]
	v_lshlrev_b16 v1, 1, v59
	v_lshlrev_b32_sdwa v0, v13, v0 dst_sel:DWORD dst_unused:UNUSED_PAD src0_sel:DWORD src1_sel:WORD_0
	v_mul_lo_u16 v2, v60, 17
	v_lshlrev_b16 v3, 1, v61
	v_lshlrev_b32_sdwa v129, v13, v128 dst_sel:DWORD dst_unused:UNUSED_PAD src0_sel:DWORD src1_sel:WORD_0
	v_lshlrev_b32_sdwa v1, v13, v1 dst_sel:DWORD dst_unused:UNUSED_PAD src0_sel:DWORD src1_sel:WORD_0
	global_load_dwordx4 v[8:11], v0, s[2:3]
	v_mul_lo_u16 v19, 0xa1, v14
	v_mul_lo_u16 v65, 0xa1, v18
	v_add_nc_u32_e32 v142, 0xc00, v129
	global_load_dwordx4 v[4:7], v1, s[2:3]
	v_sub_nc_u16 v0, v54, v2
	v_lshlrev_b32_sdwa v2, v13, v3 dst_sel:DWORD dst_unused:UNUSED_PAD src0_sel:DWORD src1_sel:WORD_0
	v_add_nc_u32_e32 v138, 0x2400, v129
	v_lshrrev_b16 v64, 13, v19
	v_add_nc_u32_e32 v140, 0x1400, v129
	v_and_b32_e32 v62, 0xff, v0
	global_load_dwordx4 v[0:3], v2, s[2:3]
	v_add_nc_u32_e32 v125, 0x400, v129
	v_add_nc_u32_e32 v139, 0x2c00, v129
	;; [unrolled: 1-line block ×3, first 2 shown]
	v_lshlrev_b32_e32 v15, 4, v62
	ds_read_b64 v[22:23], v129 offset:13328
	v_mov_b32_e32 v63, 51
	v_mul_lo_u16 v67, v64, 51
	v_lshrrev_b16 v68, 13, v65
	global_load_dwordx4 v[28:31], v15, s[2:3]
	v_mov_b32_e32 v15, 0xa0a1
	v_mul_u32_u24_sdwa v52, v52, v63 dst_sel:DWORD dst_unused:UNUSED_PAD src0_sel:WORD_0 src1_sel:DWORD
	v_mul_u32_u24_sdwa v60, v60, v63 dst_sel:DWORD dst_unused:UNUSED_PAD src0_sel:WORD_0 src1_sel:DWORD
	v_sub_nc_u16 v63, v128, v67
	v_mul_lo_u16 v67, v68, 51
	v_mul_u32_u24_sdwa v20, v12, v15 dst_sel:DWORD dst_unused:UNUSED_PAD src0_sel:WORD_0 src1_sel:DWORD
	ds_read2_b64 v[14:17], v129 offset1:119
	v_mad_u16 v53, v53, 51, v58
	v_mad_u16 v55, v55, 51, v59
	v_sub_nc_u16 v54, v54, v67
	v_lshrrev_b32_e32 v66, 21, v20
	ds_read2_b64 v[18:21], v142 offset0:92 offset1:211
	ds_read2_b64 v[32:35], v138 offset0:38 offset1:157
	;; [unrolled: 1-line block ×6, first 2 shown]
	v_mad_u16 v57, v57, 51, v61
	v_add_lshl_u32 v137, v52, v56, 3
	v_lshlrev_b32_sdwa v135, v13, v53 dst_sel:DWORD dst_unused:UNUSED_PAD src0_sel:DWORD src1_sel:WORD_0
	v_lshlrev_b32_sdwa v134, v13, v55 dst_sel:DWORD dst_unused:UNUSED_PAD src0_sel:DWORD src1_sel:WORD_0
	v_and_b32_e32 v72, 0xff, v54
	v_lshlrev_b32_sdwa v133, v13, v57 dst_sel:DWORD dst_unused:UNUSED_PAD src0_sel:DWORD src1_sel:WORD_0
	v_add_lshl_u32 v136, v60, v62, 3
	v_and_b32_e32 v69, 0xff, v63
	v_mul_lo_u16 v65, v66, 51
	s_waitcnt vmcnt(0) lgkmcnt(0)
	s_barrier
	buffer_gl0_inv
	v_lshlrev_b32_e32 v56, 5, v69
	v_sub_nc_u16 v65, v12, v65
	v_lshlrev_b16 v58, 5, v65
	v_mul_f32_e32 v52, v21, v25
	v_mul_f32_e32 v53, v20, v25
	;; [unrolled: 1-line block ×4, first 2 shown]
	v_fma_f32 v20, v20, v24, -v52
	v_fmac_f32_e32 v53, v21, v24
	v_mul_f32_e32 v57, v39, v9
	v_mul_f32_e32 v59, v38, v9
	;; [unrolled: 1-line block ×3, first 2 shown]
	v_fma_f32 v21, v32, v26, -v54
	v_mul_f32_e32 v62, v49, v5
	v_mul_f32_e32 v70, v46, v7
	v_fmac_f32_e32 v55, v33, v26
	v_mul_f32_e32 v61, v44, v11
	v_mul_f32_e32 v63, v48, v5
	;; [unrolled: 1-line block ×3, first 2 shown]
	v_fma_f32 v38, v38, v8, -v57
	v_mul_f32_e32 v74, v23, v3
	v_mul_f32_e32 v75, v22, v3
	;; [unrolled: 1-line block ×4, first 2 shown]
	v_fmac_f32_e32 v59, v39, v8
	v_fma_f32 v39, v44, v10, -v60
	v_fma_f32 v44, v48, v4, -v62
	v_fmac_f32_e32 v70, v47, v6
	v_fma_f32 v47, v22, v2, -v74
	v_mul_f32_e32 v32, v37, v29
	v_mul_f32_e32 v33, v36, v29
	;; [unrolled: 1-line block ×4, first 2 shown]
	v_fmac_f32_e32 v75, v23, v2
	v_fma_f32 v22, v36, v28, -v32
	v_fmac_f32_e32 v33, v37, v28
	v_fma_f32 v48, v34, v30, -v52
	v_fmac_f32_e32 v54, v35, v30
	v_add_f32_e32 v23, v14, v20
	v_add_f32_e32 v34, v15, v53
	v_fmac_f32_e32 v61, v45, v10
	v_fmac_f32_e32 v63, v49, v4
	v_fma_f32 v45, v46, v6, -v67
	v_fma_f32 v46, v50, v0, -v71
	v_fmac_f32_e32 v73, v51, v0
	v_add_f32_e32 v32, v20, v21
	v_add_f32_e32 v35, v53, v55
	v_sub_f32_e32 v49, v53, v55
	v_sub_f32_e32 v50, v20, v21
	v_add_f32_e32 v37, v38, v39
	v_add_f32_e32 v20, v23, v21
	;; [unrolled: 1-line block ×7, first 2 shown]
	v_sub_f32_e32 v51, v59, v61
	v_add_f32_e32 v52, v41, v59
	v_sub_f32_e32 v57, v38, v39
	v_add_f32_e32 v38, v42, v44
	v_add_f32_e32 v59, v44, v45
	v_sub_f32_e32 v60, v63, v70
	v_add_f32_e32 v62, v43, v63
	v_add_f32_e32 v63, v63, v70
	v_add_f32_e32 v71, v46, v47
	v_sub_f32_e32 v74, v73, v75
	v_add_f32_e32 v76, v19, v73
	v_add_f32_e32 v73, v73, v75
	v_fma_f32 v14, -0.5, v32, v14
	v_fma_f32 v15, -0.5, v35, v15
	v_sub_f32_e32 v67, v44, v45
	v_add_f32_e32 v44, v18, v46
	v_sub_f32_e32 v77, v46, v47
	v_add_f32_e32 v46, v16, v22
	;; [unrolled: 2-line block ×3, first 2 shown]
	v_sub_f32_e32 v81, v22, v48
	v_fma_f32 v32, -0.5, v37, v40
	v_fma_f32 v16, -0.5, v55, v16
	v_fmac_f32_e32 v17, -0.5, v80
	v_fma_f32 v33, -0.5, v53, v41
	v_add_f32_e32 v22, v36, v39
	v_add_f32_e32 v34, v38, v45
	v_fma_f32 v42, -0.5, v59, v42
	v_fmac_f32_e32 v43, -0.5, v63
	v_fma_f32 v18, -0.5, v71, v18
	v_fmac_f32_e32 v19, -0.5, v73
	v_fmamk_f32 v38, v49, 0x3f5db3d7, v14
	v_fmamk_f32 v39, v50, 0xbf5db3d7, v15
	v_fmac_f32_e32 v14, 0xbf5db3d7, v49
	v_fmac_f32_e32 v15, 0x3f5db3d7, v50
	v_add_f32_e32 v36, v44, v47
	v_add_f32_e32 v40, v46, v48
	;; [unrolled: 1-line block ×3, first 2 shown]
	v_fmamk_f32 v44, v51, 0x3f5db3d7, v32
	v_fmac_f32_e32 v32, 0xbf5db3d7, v51
	v_fmamk_f32 v50, v78, 0x3f5db3d7, v16
	v_fmamk_f32 v51, v81, 0xbf5db3d7, v17
	v_fmac_f32_e32 v16, 0xbf5db3d7, v78
	v_fmac_f32_e32 v17, 0x3f5db3d7, v81
	v_add_f32_e32 v23, v52, v61
	v_fmamk_f32 v45, v57, 0xbf5db3d7, v33
	v_add_f32_e32 v35, v62, v70
	v_add_f32_e32 v37, v76, v75
	v_fmac_f32_e32 v33, 0x3f5db3d7, v57
	v_fmamk_f32 v46, v60, 0x3f5db3d7, v42
	v_fmac_f32_e32 v42, 0xbf5db3d7, v60
	v_fmamk_f32 v47, v67, 0xbf5db3d7, v43
	;; [unrolled: 2-line block ×4, first 2 shown]
	v_fmac_f32_e32 v19, 0x3f5db3d7, v77
	ds_write2_b64 v137, v[20:21], v[38:39] offset1:17
	ds_write_b64 v137, v[14:15] offset:272
	ds_write2_b64 v136, v[40:41], v[50:51] offset1:17
	ds_write_b64 v136, v[16:17] offset:272
	;; [unrolled: 2-line block ×5, first 2 shown]
	v_and_b32_e32 v14, 0xffff, v58
	v_lshlrev_b32_e32 v16, 5, v72
	s_waitcnt lgkmcnt(0)
	s_barrier
	buffer_gl0_inv
	v_add_co_u32 v14, s0, s2, v14
	s_clause 0x2
	global_load_dwordx4 v[52:55], v56, s[2:3] offset:272
	global_load_dwordx4 v[44:47], v16, s[2:3] offset:272
	;; [unrolled: 1-line block ×3, first 2 shown]
	v_add_co_ci_u32_e64 v15, null, s3, 0, s0
	s_clause 0x2
	global_load_dwordx4 v[36:39], v16, s[2:3] offset:288
	global_load_dwordx4 v[40:43], v[14:15], off offset:272
	global_load_dwordx4 v[32:35], v[14:15], off offset:288
	v_mov_b32_e32 v22, 0xff
	ds_read2_b64 v[14:17], v125 offset0:110 offset1:229
	ds_read2_b64 v[18:21], v140 offset0:74 offset1:193
	;; [unrolled: 1-line block ×4, first 2 shown]
	v_mad_u16 v73, 0xff, v66, v65
	v_cmp_gt_u16_e64 s0, 17, v128
	v_mul_u32_u24_sdwa v23, v64, v22 dst_sel:DWORD dst_unused:UNUSED_PAD src0_sel:WORD_0 src1_sel:DWORD
	v_mul_u32_u24_sdwa v22, v68, v22 dst_sel:DWORD dst_unused:UNUSED_PAD src0_sel:WORD_0 src1_sel:DWORD
	ds_read2_b64 v[64:67], v142 offset0:92 offset1:211
	v_lshlrev_b32_sdwa v130, v13, v73 dst_sel:DWORD dst_unused:UNUSED_PAD src0_sel:DWORD src1_sel:WORD_0
	v_add_lshl_u32 v132, v23, v69, 3
	ds_read2_b64 v[68:71], v138 offset0:38 offset1:157
	v_add_lshl_u32 v131, v22, v72, 3
	ds_read2_b64 v[72:75], v129 offset1:119
	ds_read_b64 v[22:23], v129 offset:13328
	s_waitcnt vmcnt(0) lgkmcnt(0)
	s_barrier
	buffer_gl0_inv
	v_mul_f32_e32 v13, v17, v53
	v_mul_f32_e32 v76, v16, v53
	;; [unrolled: 1-line block ×24, first 2 shown]
	v_fma_f32 v13, v16, v52, -v13
	v_fmac_f32_e32 v76, v17, v52
	v_fma_f32 v16, v18, v54, -v77
	v_fmac_f32_e32 v78, v19, v54
	;; [unrolled: 2-line block ×4, first 2 shown]
	v_fma_f32 v17, v64, v44, -v81
	v_fma_f32 v20, v20, v46, -v89
	v_fmac_f32_e32 v90, v21, v46
	v_fma_f32 v59, v68, v36, -v91
	v_fmac_f32_e32 v92, v69, v36
	v_fmac_f32_e32 v88, v65, v44
	v_fma_f32 v68, v62, v38, -v93
	v_fmac_f32_e32 v94, v63, v38
	v_fma_f32 v18, v66, v40, -v95
	;; [unrolled: 2-line block ×5, first 2 shown]
	v_fmac_f32_e32 v102, v23, v34
	v_add_f32_e32 v19, v72, v13
	v_add_f32_e32 v21, v16, v58
	v_sub_f32_e32 v22, v13, v16
	v_sub_f32_e32 v23, v77, v58
	v_add_f32_e32 v63, v73, v76
	v_add_f32_e32 v64, v78, v86
	;; [unrolled: 1-line block ×4, first 2 shown]
	v_sub_f32_e32 v60, v16, v13
	v_sub_f32_e32 v61, v58, v77
	v_add_f32_e32 v81, v74, v17
	v_add_f32_e32 v89, v20, v59
	;; [unrolled: 1-line block ×6, first 2 shown]
	v_sub_f32_e32 v67, v76, v87
	v_sub_f32_e32 v13, v13, v77
	;; [unrolled: 1-line block ×10, first 2 shown]
	v_add_f32_e32 v112, v14, v18
	v_add_f32_e32 v113, v56, v62
	;; [unrolled: 1-line block ×7, first 2 shown]
	v_fma_f32 v16, -0.5, v21, v72
	v_add_f32_e32 v148, v22, v23
	v_add_f32_e32 v23, v63, v78
	v_fma_f32 v17, -0.5, v64, v73
	v_sub_f32_e32 v69, v78, v86
	v_sub_f32_e32 v116, v18, v56
	;; [unrolled: 1-line block ×4, first 2 shown]
	v_fma_f32 v18, -0.5, v57, v72
	v_fma_f32 v19, -0.5, v79, v73
	v_sub_f32_e32 v91, v88, v94
	v_sub_f32_e32 v107, v20, v59
	v_add_f32_e32 v72, v60, v61
	v_add_f32_e32 v60, v81, v20
	v_fma_f32 v20, -0.5, v89, v74
	v_fma_f32 v21, -0.5, v105, v75
	v_sub_f32_e32 v93, v90, v92
	v_fma_f32 v74, -0.5, v99, v74
	v_add_f32_e32 v61, v104, v90
	v_fmac_f32_e32 v75, -0.5, v110
	v_sub_f32_e32 v114, v96, v102
	v_sub_f32_e32 v115, v98, v100
	;; [unrolled: 1-line block ×3, first 2 shown]
	v_add_f32_e32 v78, v65, v66
	v_add_f32_e32 v73, v76, v80
	;; [unrolled: 1-line block ×3, first 2 shown]
	v_fma_f32 v80, -0.5, v113, v14
	v_fma_f32 v14, -0.5, v118, v14
	v_add_f32_e32 v65, v121, v98
	v_fma_f32 v81, -0.5, v122, v15
	v_fmac_f32_e32 v15, -0.5, v145
	v_fmamk_f32 v22, v67, 0x3f737871, v16
	v_add_f32_e32 v86, v23, v86
	v_fmamk_f32 v23, v13, 0xbf737871, v17
	v_fmamk_f32 v56, v69, 0xbf737871, v18
	v_fmac_f32_e32 v18, 0x3f737871, v69
	v_fmamk_f32 v57, v71, 0x3f737871, v19
	v_fmac_f32_e32 v19, 0xbf737871, v71
	v_fmac_f32_e32 v16, 0xbf737871, v67
	;; [unrolled: 1-line block ×3, first 2 shown]
	v_sub_f32_e32 v97, v68, v59
	v_sub_f32_e32 v103, v59, v68
	;; [unrolled: 1-line block ×6, first 2 shown]
	v_add_f32_e32 v66, v147, v58
	v_add_f32_e32 v98, v60, v59
	v_fmamk_f32 v58, v91, 0x3f737871, v20
	v_fmamk_f32 v59, v106, 0xbf737871, v21
	v_sub_f32_e32 v88, v90, v88
	v_sub_f32_e32 v111, v92, v94
	v_fmamk_f32 v60, v93, 0xbf737871, v74
	v_fmac_f32_e32 v74, 0x3f737871, v93
	v_add_f32_e32 v92, v61, v92
	v_fmamk_f32 v61, v107, 0x3f737871, v75
	v_fmac_f32_e32 v75, 0xbf737871, v107
	v_sub_f32_e32 v117, v70, v62
	v_sub_f32_e32 v120, v62, v70
	;; [unrolled: 1-line block ×4, first 2 shown]
	v_fmac_f32_e32 v20, 0xbf737871, v91
	v_fmac_f32_e32 v21, 0x3f737871, v106
	v_add_f32_e32 v99, v63, v62
	v_fmamk_f32 v62, v114, 0x3f737871, v80
	v_fmac_f32_e32 v80, 0xbf737871, v114
	v_fmamk_f32 v64, v115, 0xbf737871, v14
	v_fmac_f32_e32 v14, 0x3f737871, v115
	v_add_f32_e32 v100, v65, v100
	v_fmamk_f32 v63, v123, 0xbf737871, v81
	v_fmac_f32_e32 v81, 0x3f737871, v123
	v_fmamk_f32 v65, v126, 0x3f737871, v15
	v_fmac_f32_e32 v15, 0xbf737871, v126
	v_fmac_f32_e32 v22, 0x3f167918, v69
	;; [unrolled: 1-line block ×9, first 2 shown]
	v_add_f32_e32 v76, v95, v97
	v_add_f32_e32 v89, v108, v109
	v_fmac_f32_e32 v58, 0x3f167918, v93
	v_fmac_f32_e32 v59, 0xbf167918, v107
	v_add_f32_e32 v79, v101, v103
	v_add_f32_e32 v88, v88, v111
	v_fmac_f32_e32 v60, 0x3f167918, v91
	v_fmac_f32_e32 v74, 0xbf167918, v91
	v_fmac_f32_e32 v61, 0xbf167918, v106
	v_fmac_f32_e32 v75, 0x3f167918, v106
	v_add_f32_e32 v90, v116, v117
	v_add_f32_e32 v95, v119, v120
	;; [unrolled: 1-line block ×6, first 2 shown]
	v_fmac_f32_e32 v20, 0xbf167918, v93
	v_fmac_f32_e32 v21, 0x3f167918, v107
	;; [unrolled: 1-line block ×18, first 2 shown]
	v_add_f32_e32 v68, v98, v68
	v_add_f32_e32 v69, v92, v94
	v_fmac_f32_e32 v58, 0x3e9e377a, v76
	v_fmac_f32_e32 v59, 0x3e9e377a, v89
	;; [unrolled: 1-line block ×6, first 2 shown]
	v_add_f32_e32 v70, v99, v70
	v_add_f32_e32 v71, v100, v102
	v_fmac_f32_e32 v20, 0x3e9e377a, v76
	v_fmac_f32_e32 v21, 0x3e9e377a, v89
	;; [unrolled: 1-line block ×10, first 2 shown]
	ds_write2_b64 v132, v[66:67], v[22:23] offset1:51
	ds_write2_b64 v132, v[56:57], v[18:19] offset0:102 offset1:153
	ds_write_b64 v132, v[16:17] offset:1632
	ds_write2_b64 v131, v[68:69], v[58:59] offset1:51
	ds_write2_b64 v131, v[60:61], v[74:75] offset0:102 offset1:153
	ds_write_b64 v131, v[20:21] offset:1632
	;; [unrolled: 3-line block ×3, first 2 shown]
	s_waitcnt lgkmcnt(0)
	s_barrier
	buffer_gl0_inv
	ds_read2_b64 v[88:91], v129 offset1:119
	ds_read2_b64 v[96:99], v125 offset0:127 offset1:246
	ds_read2_b64 v[100:103], v142 offset0:126 offset1:245
	;; [unrolled: 1-line block ×6, first 2 shown]
                                        ; implicit-def: $vgpr94
                                        ; implicit-def: $vgpr120
	s_and_saveexec_b32 s1, s0
	s_cbranch_execz .LBB0_9
; %bb.8:
	v_add_nc_u32_e32 v13, 0x770, v129
	v_add_nc_u32_e32 v14, 0x1760, v129
	;; [unrolled: 1-line block ×3, first 2 shown]
	ds_read2_b64 v[80:83], v13 offset1:255
	ds_read2_b64 v[84:87], v14 offset1:255
	;; [unrolled: 1-line block ×3, first 2 shown]
	ds_read_b64 v[120:121], v129 offset:14144
.LBB0_9:
	s_or_b32 exec_lo, exec_lo, s1
	v_mad_u64_u32 v[13:14], null, v128, 48, s[2:3]
	s_clause 0x2
	global_load_dwordx4 v[76:79], v[13:14], off offset:1904
	global_load_dwordx4 v[68:71], v[13:14], off offset:1920
	;; [unrolled: 1-line block ×3, first 2 shown]
	v_add_co_u32 v15, s1, 0x1800, v13
	v_add_co_ci_u32_e64 v16, s1, 0, v14, s1
	v_add_co_u32 v13, s1, 0x1dc0, v13
	v_add_co_ci_u32_e64 v14, s1, 0, v14, s1
	s_clause 0x2
	global_load_dwordx4 v[72:75], v[15:16], off offset:1472
	global_load_dwordx4 v[64:67], v[13:14], off offset:16
	;; [unrolled: 1-line block ×3, first 2 shown]
	v_subrev_nc_u32_e32 v13, 17, v128
	v_cndmask_b32_e64 v12, v13, v12, s0
	v_mul_i32_i24_e32 v13, 48, v12
	v_mul_hi_i32_i24_e32 v12, 48, v12
	v_add_co_u32 v20, s1, s2, v13
	v_add_co_ci_u32_e64 v21, s1, s3, v12, s1
	s_clause 0x2
	global_load_dwordx4 v[16:19], v[20:21], off offset:1904
	global_load_dwordx4 v[12:15], v[20:21], off offset:1920
	;; [unrolled: 1-line block ×3, first 2 shown]
	s_waitcnt vmcnt(8) lgkmcnt(5)
	v_mul_f32_e32 v122, v97, v77
	v_mul_f32_e32 v123, v96, v77
	s_waitcnt lgkmcnt(4)
	v_mul_f32_e32 v126, v101, v79
	v_mul_f32_e32 v143, v100, v79
	s_waitcnt vmcnt(7) lgkmcnt(3)
	v_mul_f32_e32 v144, v105, v69
	v_mul_f32_e32 v145, v104, v69
	s_waitcnt lgkmcnt(2)
	v_mul_f32_e32 v146, v109, v71
	v_mul_f32_e32 v147, v108, v71
	;; [unrolled: 6-line block ×3, first 2 shown]
	v_fma_f32 v96, v96, v76, -v122
	v_fmac_f32_e32 v123, v97, v76
	v_fma_f32 v97, v100, v78, -v126
	v_fmac_f32_e32 v143, v101, v78
	;; [unrolled: 2-line block ×6, first 2 shown]
	s_waitcnt vmcnt(5)
	v_mul_f32_e32 v108, v99, v73
	v_mul_f32_e32 v109, v98, v73
	v_mul_f32_e32 v112, v103, v75
	v_mul_f32_e32 v113, v102, v75
	s_waitcnt vmcnt(4)
	v_mul_f32_e32 v116, v107, v65
	v_mul_f32_e32 v117, v106, v65
	v_mul_f32_e32 v122, v111, v67
	v_mul_f32_e32 v126, v110, v67
	;; [unrolled: 5-line block ×3, first 2 shown]
	v_fma_f32 v98, v98, v72, -v108
	v_fmac_f32_e32 v109, v99, v72
	v_fma_f32 v99, v102, v74, -v112
	v_fmac_f32_e32 v113, v103, v74
	;; [unrolled: 2-line block ×6, first 2 shown]
	v_add_f32_e32 v108, v96, v105
	v_add_f32_e32 v110, v123, v151
	v_sub_f32_e32 v96, v96, v105
	v_sub_f32_e32 v105, v123, v151
	v_add_f32_e32 v111, v97, v104
	v_add_f32_e32 v112, v143, v149
	v_sub_f32_e32 v97, v97, v104
	v_sub_f32_e32 v104, v143, v149
	;; [unrolled: 4-line block ×3, first 2 shown]
	s_waitcnt vmcnt(2)
	v_mul_f32_e32 v116, v83, v17
	v_mul_f32_e32 v118, v82, v17
	;; [unrolled: 1-line block ×4, first 2 shown]
	s_waitcnt vmcnt(1)
	v_mul_f32_e32 v123, v87, v13
	v_mul_f32_e32 v143, v86, v13
	s_waitcnt vmcnt(0)
	v_mul_f32_e32 v147, v95, v21
	v_mul_f32_e32 v148, v94, v21
	;; [unrolled: 1-line block ×6, first 2 shown]
	v_add_f32_e32 v152, v111, v108
	v_add_f32_e32 v153, v112, v110
	v_sub_f32_e32 v154, v111, v108
	v_sub_f32_e32 v155, v112, v110
	;; [unrolled: 1-line block ×6, first 2 shown]
	v_add_f32_e32 v156, v100, v97
	v_add_f32_e32 v157, v101, v104
	v_sub_f32_e32 v158, v100, v97
	v_sub_f32_e32 v159, v101, v104
	;; [unrolled: 1-line block ×4, first 2 shown]
	v_add_f32_e32 v160, v98, v107
	v_add_f32_e32 v161, v109, v150
	v_sub_f32_e32 v98, v98, v107
	v_sub_f32_e32 v107, v109, v150
	v_add_f32_e32 v109, v99, v106
	v_add_f32_e32 v150, v113, v146
	v_sub_f32_e32 v99, v99, v106
	v_sub_f32_e32 v106, v113, v146
	v_add_f32_e32 v113, v102, v103
	v_add_f32_e32 v146, v117, v126
	v_sub_f32_e32 v102, v103, v102
	v_fma_f32 v82, v82, v16, -v116
	v_fmac_f32_e32 v118, v83, v16
	v_fma_f32 v83, v84, v18, -v119
	v_fmac_f32_e32 v122, v85, v18
	;; [unrolled: 2-line block ×5, first 2 shown]
	v_sub_f32_e32 v100, v96, v100
	v_sub_f32_e32 v101, v105, v101
	;; [unrolled: 1-line block ×3, first 2 shown]
	v_fma_f32 v85, v92, v14, -v144
	v_fmac_f32_e32 v145, v93, v14
	v_add_f32_e32 v94, v114, v152
	v_add_f32_e32 v95, v115, v153
	;; [unrolled: 1-line block ×3, first 2 shown]
	v_mul_f32_e32 v108, 0x3f4a47b2, v108
	v_mul_f32_e32 v110, 0x3f4a47b2, v110
	;; [unrolled: 1-line block ×8, first 2 shown]
	v_add_f32_e32 v121, v109, v160
	v_add_f32_e32 v123, v150, v161
	v_sub_f32_e32 v126, v109, v160
	v_sub_f32_e32 v144, v150, v161
	v_sub_f32_e32 v147, v160, v113
	v_sub_f32_e32 v149, v161, v146
	v_sub_f32_e32 v109, v113, v109
	v_sub_f32_e32 v150, v146, v150
	v_add_f32_e32 v152, v102, v99
	v_sub_f32_e32 v156, v102, v99
	v_sub_f32_e32 v158, v99, v98
	v_add_f32_e32 v99, v82, v87
	v_add_f32_e32 v159, v118, v151
	v_sub_f32_e32 v82, v82, v87
	v_sub_f32_e32 v87, v118, v151
	v_add_f32_e32 v118, v83, v86
	v_add_f32_e32 v151, v122, v148
	;; [unrolled: 1-line block ×4, first 2 shown]
	v_sub_f32_e32 v157, v103, v106
	v_sub_f32_e32 v102, v98, v102
	;; [unrolled: 1-line block ×5, first 2 shown]
	v_add_f32_e32 v122, v84, v85
	v_add_f32_e32 v148, v143, v145
	v_sub_f32_e32 v84, v85, v84
	v_sub_f32_e32 v85, v145, v143
	v_add_f32_e32 v92, v88, v94
	v_add_f32_e32 v93, v89, v95
	v_fmamk_f32 v88, v111, 0x3d64c772, v108
	v_fmamk_f32 v89, v112, 0x3d64c772, v110
	v_fma_f32 v111, 0x3f3bfb3b, v154, -v114
	v_fma_f32 v112, 0x3f3bfb3b, v155, -v115
	v_fmamk_f32 v143, v100, 0x3eae86e6, v116
	v_fmamk_f32 v145, v101, 0x3eae86e6, v117
	v_fma_f32 v97, 0x3f5ff5aa, v97, -v116
	v_fma_f32 v104, 0x3f5ff5aa, v104, -v117
	;; [unrolled: 1-line block ×4, first 2 shown]
	v_add_f32_e32 v100, v113, v121
	v_add_f32_e32 v101, v146, v123
	;; [unrolled: 1-line block ×3, first 2 shown]
	v_mul_f32_e32 v114, 0x3f4a47b2, v147
	v_mul_f32_e32 v115, 0x3f4a47b2, v149
	;; [unrolled: 1-line block ×5, first 2 shown]
	v_add_f32_e32 v149, v118, v99
	v_add_f32_e32 v152, v151, v159
	v_sub_f32_e32 v103, v107, v103
	v_fma_f32 v108, 0xbf3bfb3b, v154, -v108
	v_fma_f32 v110, 0xbf3bfb3b, v155, -v110
	v_add_f32_e32 v107, v153, v107
	v_mul_f32_e32 v123, 0xbf08b237, v157
	v_mul_f32_e32 v146, 0x3f5ff5aa, v158
	;; [unrolled: 1-line block ×3, first 2 shown]
	v_sub_f32_e32 v153, v118, v99
	v_sub_f32_e32 v154, v151, v159
	;; [unrolled: 1-line block ×6, first 2 shown]
	v_add_f32_e32 v157, v84, v83
	v_add_f32_e32 v159, v85, v86
	v_sub_f32_e32 v160, v84, v83
	v_sub_f32_e32 v161, v85, v86
	;; [unrolled: 1-line block ×4, first 2 shown]
	v_fmac_f32_e32 v145, 0x3ee1c552, v105
	v_fmac_f32_e32 v104, 0x3ee1c552, v105
	;; [unrolled: 1-line block ×3, first 2 shown]
	v_add_f32_e32 v98, v90, v100
	v_add_f32_e32 v99, v91, v101
	v_fma_f32 v105, 0x3f3bfb3b, v126, -v119
	v_fma_f32 v119, 0x3f3bfb3b, v144, -v120
	;; [unrolled: 1-line block ×4, first 2 shown]
	v_fmamk_f32 v144, v102, 0x3eae86e6, v121
	v_fma_f32 v158, 0x3f5ff5aa, v158, -v121
	v_add_f32_e32 v121, v122, v149
	v_add_f32_e32 v122, v148, v152
	v_sub_f32_e32 v84, v82, v84
	v_sub_f32_e32 v85, v87, v85
	v_fmamk_f32 v94, v94, 0xbf955555, v92
	v_fmamk_f32 v95, v95, 0xbf955555, v93
	v_fmac_f32_e32 v143, 0x3ee1c552, v96
	v_fmac_f32_e32 v97, 0x3ee1c552, v96
	;; [unrolled: 1-line block ×3, first 2 shown]
	v_fmamk_f32 v90, v109, 0x3d64c772, v114
	v_fmamk_f32 v91, v150, 0x3d64c772, v115
	;; [unrolled: 1-line block ×3, first 2 shown]
	v_fma_f32 v106, 0x3f5ff5aa, v106, -v123
	v_fma_f32 v102, 0xbeae86e6, v102, -v146
	;; [unrolled: 1-line block ×3, first 2 shown]
	v_add_f32_e32 v82, v157, v82
	v_mul_f32_e32 v96, 0x3f4a47b2, v155
	v_mul_f32_e32 v109, 0x3f4a47b2, v156
	;; [unrolled: 1-line block ×8, first 2 shown]
	v_fmamk_f32 v156, v100, 0xbf955555, v98
	v_fmamk_f32 v157, v101, 0xbf955555, v99
	v_add_f32_e32 v100, v80, v121
	v_add_f32_e32 v101, v81, v122
	;; [unrolled: 1-line block ×8, first 2 shown]
	v_fmac_f32_e32 v144, 0x3ee1c552, v113
	v_fmac_f32_e32 v150, 0x3ee1c552, v107
	;; [unrolled: 1-line block ×4, first 2 shown]
	v_fmamk_f32 v80, v118, 0x3d64c772, v96
	v_fmamk_f32 v81, v151, 0x3d64c772, v109
	v_fma_f32 v151, 0x3f3bfb3b, v153, -v114
	v_fma_f32 v159, 0x3f3bfb3b, v154, -v115
	;; [unrolled: 1-line block ×4, first 2 shown]
	v_fmamk_f32 v160, v84, 0x3eae86e6, v123
	v_fmamk_f32 v161, v85, 0x3eae86e6, v146
	v_fma_f32 v162, 0x3f5ff5aa, v83, -v123
	v_fma_f32 v86, 0x3f5ff5aa, v86, -v146
	;; [unrolled: 1-line block ×4, first 2 shown]
	v_add_f32_e32 v83, v90, v156
	v_add_f32_e32 v84, v91, v157
	v_add_f32_e32 v85, v105, v156
	v_add_f32_e32 v90, v126, v157
	v_fmamk_f32 v91, v121, 0xbf955555, v100
	v_fmamk_f32 v126, v122, 0xbf955555, v101
	v_add_f32_e32 v152, v108, v94
	v_fmac_f32_e32 v158, 0x3ee1c552, v113
	v_fmac_f32_e32 v103, 0x3ee1c552, v107
	v_add_f32_e32 v94, v145, v88
	v_sub_f32_e32 v95, v89, v143
	v_sub_f32_e32 v113, v155, v116
	;; [unrolled: 1-line block ×3, first 2 shown]
	v_add_f32_e32 v115, v97, v149
	v_add_f32_e32 v108, v104, v111
	v_sub_f32_e32 v109, v149, v97
	v_add_f32_e32 v111, v116, v155
	v_sub_f32_e32 v96, v88, v145
	v_add_f32_e32 v97, v143, v89
	v_add_f32_e32 v88, v119, v157
	;; [unrolled: 1-line block ×3, first 2 shown]
	v_fmac_f32_e32 v160, 0x3ee1c552, v82
	v_fmac_f32_e32 v161, 0x3ee1c552, v87
	;; [unrolled: 1-line block ×6, first 2 shown]
	v_add_f32_e32 v120, v150, v83
	v_sub_f32_e32 v121, v84, v144
	v_sub_f32_e32 v123, v90, v102
	;; [unrolled: 1-line block ×3, first 2 shown]
	v_add_f32_e32 v118, v106, v85
	v_add_f32_e32 v105, v102, v90
	v_add_f32_e32 v107, v144, v84
	v_add_f32_e32 v80, v80, v91
	v_add_f32_e32 v81, v81, v126
	v_add_f32_e32 v84, v151, v91
	v_add_f32_e32 v85, v159, v126
	v_add_f32_e32 v87, v153, v91
	v_add_f32_e32 v90, v154, v126
	v_add_f32_e32 v112, v117, v152
	v_sub_f32_e32 v110, v152, v117
	v_add_f32_e32 v122, v103, v89
	v_add_f32_e32 v117, v158, v88
	v_sub_f32_e32 v119, v88, v158
	v_sub_f32_e32 v104, v89, v103
	;; [unrolled: 1-line block ×3, first 2 shown]
	ds_write2_b64 v125, v[94:95], v[120:121] offset0:127 offset1:246
	v_add_f32_e32 v102, v161, v80
	v_sub_f32_e32 v103, v81, v160
	v_add_f32_e32 v88, v147, v87
	v_sub_f32_e32 v89, v90, v146
	v_sub_f32_e32 v82, v84, v86
	v_add_f32_e32 v83, v162, v85
	v_add_f32_e32 v84, v86, v84
	v_sub_f32_e32 v85, v85, v162
	v_sub_f32_e32 v86, v87, v147
	v_add_f32_e32 v87, v146, v90
	v_sub_f32_e32 v125, v80, v161
	v_add_f32_e32 v126, v160, v81
	ds_write2_b64 v129, v[92:93], v[98:99] offset1:119
	ds_write2_b64 v142, v[112:113], v[122:123] offset0:126 offset1:245
	ds_write2_b64 v140, v[114:115], v[116:117] offset0:125 offset1:244
	;; [unrolled: 1-line block ×5, first 2 shown]
	s_and_saveexec_b32 s1, s0
	s_cbranch_execz .LBB0_11
; %bb.10:
	v_add_nc_u32_e32 v80, 0x770, v129
	v_add_nc_u32_e32 v81, 0x1760, v129
	;; [unrolled: 1-line block ×3, first 2 shown]
	ds_write2_b64 v80, v[100:101], v[102:103] offset1:255
	ds_write2_b64 v81, v[88:89], v[82:83] offset1:255
	;; [unrolled: 1-line block ×3, first 2 shown]
	ds_write_b64 v129, v[125:126] offset:14144
.LBB0_11:
	s_or_b32 exec_lo, exec_lo, s1
	s_waitcnt lgkmcnt(0)
	s_barrier
	buffer_gl0_inv
	s_and_saveexec_b32 s2, vcc_lo
	s_cbranch_execz .LBB0_13
; %bb.12:
	v_add_co_u32 v144, s1, s12, v127
	v_add_co_ci_u32_e64 v145, null, s13, 0, s1
	v_add_nc_u32_e32 v200, 0x800, v127
	v_add_co_u32 v80, s1, 0x3000, v144
	v_add_co_ci_u32_e64 v81, s1, 0, v145, s1
	v_add_co_u32 v90, s1, 0x37c8, v144
	v_add_co_ci_u32_e64 v91, s1, 0, v145, s1
	global_load_dwordx2 v[80:81], v[80:81], off offset:1992
	v_add_co_u32 v138, s1, 0x4000, v144
	v_add_co_ci_u32_e64 v139, s1, 0, v145, s1
	v_add_co_u32 v140, s1, 0x4800, v144
	v_add_co_ci_u32_e64 v141, s1, 0, v145, s1
	;; [unrolled: 2-line block ×3, first 2 shown]
	s_clause 0x3
	global_load_dwordx2 v[170:171], v[90:91], off offset:840
	global_load_dwordx2 v[172:173], v[138:139], off offset:416
	global_load_dwordx2 v[90:91], v[90:91], off offset:1680
	global_load_dwordx2 v[174:175], v[138:139], off offset:1256
	v_add_co_u32 v138, s1, 0x5800, v144
	v_add_co_ci_u32_e64 v139, s1, 0, v145, s1
	s_clause 0x3
	global_load_dwordx2 v[176:177], v[140:141], off offset:48
	global_load_dwordx2 v[178:179], v[140:141], off offset:888
	global_load_dwordx2 v[180:181], v[140:141], off offset:1728
	global_load_dwordx2 v[182:183], v[142:143], off offset:520
	v_add_co_u32 v140, s1, 0x6000, v144
	v_add_co_ci_u32_e64 v141, s1, 0, v145, s1
	;; [unrolled: 7-line block ×3, first 2 shown]
	s_clause 0x3
	global_load_dwordx2 v[192:193], v[140:141], off offset:624
	global_load_dwordx2 v[194:195], v[140:141], off offset:1464
	;; [unrolled: 1-line block ×4, first 2 shown]
	ds_read_b64 v[138:139], v129
	v_add_nc_u32_e32 v201, 0x1000, v127
	v_add_nc_u32_e32 v202, 0x1400, v127
	;; [unrolled: 1-line block ×6, first 2 shown]
	s_waitcnt vmcnt(16) lgkmcnt(0)
	v_mul_f32_e32 v140, v139, v81
	v_mul_f32_e32 v141, v138, v81
	v_fma_f32 v140, v138, v80, -v140
	v_fmac_f32_e32 v141, v139, v80
	ds_write_b64 v129, v[140:141]
	ds_read2_b64 v[138:141], v127 offset0:105 offset1:210
	ds_read2_b64 v[142:145], v200 offset0:59 offset1:164
	;; [unrolled: 1-line block ×8, first 2 shown]
	s_waitcnt vmcnt(15) lgkmcnt(7)
	v_mul_f32_e32 v80, v139, v171
	v_mul_f32_e32 v81, v138, v171
	s_waitcnt vmcnt(13)
	v_mul_f32_e32 v207, v141, v91
	v_mul_f32_e32 v171, v140, v91
	s_waitcnt lgkmcnt(6)
	v_mul_f32_e32 v208, v143, v173
	v_mul_f32_e32 v91, v142, v173
	s_waitcnt vmcnt(12)
	v_mul_f32_e32 v209, v145, v175
	v_mul_f32_e32 v173, v144, v175
	s_waitcnt vmcnt(11) lgkmcnt(5)
	v_mul_f32_e32 v210, v147, v177
	v_mul_f32_e32 v175, v146, v177
	s_waitcnt vmcnt(10)
	v_mul_f32_e32 v211, v149, v179
	v_mul_f32_e32 v177, v148, v179
	s_waitcnt vmcnt(9) lgkmcnt(4)
	;; [unrolled: 6-line block ×6, first 2 shown]
	v_mul_f32_e32 v220, v167, v197
	v_mul_f32_e32 v195, v166, v197
	s_waitcnt vmcnt(0)
	v_mul_f32_e32 v221, v169, v199
	v_mul_f32_e32 v197, v168, v199
	v_fma_f32 v80, v138, v170, -v80
	v_fmac_f32_e32 v81, v139, v170
	v_fma_f32 v170, v140, v90, -v207
	v_fmac_f32_e32 v171, v141, v90
	;; [unrolled: 2-line block ×16, first 2 shown]
	ds_write2_b64 v127, v[80:81], v[170:171] offset0:105 offset1:210
	ds_write2_b64 v200, v[90:91], v[172:173] offset0:59 offset1:164
	ds_write2_b64 v201, v[174:175], v[176:177] offset0:13 offset1:118
	ds_write2_b64 v202, v[178:179], v[180:181] offset0:95 offset1:200
	ds_write2_b64 v203, v[182:183], v[184:185] offset0:49 offset1:154
	ds_write2_b64 v204, v[186:187], v[188:189] offset0:131 offset1:236
	ds_write2_b64 v205, v[190:191], v[192:193] offset0:85 offset1:190
	ds_write2_b64 v206, v[194:195], v[196:197] offset0:39 offset1:144
.LBB0_13:
	s_or_b32 exec_lo, exec_lo, s2
	s_waitcnt lgkmcnt(0)
	s_barrier
	buffer_gl0_inv
	s_and_saveexec_b32 s1, vcc_lo
	s_cbranch_execz .LBB0_15
; %bb.14:
	v_add_nc_u32_e32 v80, 0x400, v129
	v_add_nc_u32_e32 v81, 0xc00, v129
	;; [unrolled: 1-line block ×3, first 2 shown]
	ds_read2_b64 v[92:95], v129 offset1:105
	v_add_nc_u32_e32 v89, 0x2400, v129
	ds_read2_b64 v[112:115], v80 offset0:82 offset1:187
	ds_read2_b64 v[108:111], v81 offset0:36 offset1:141
	v_add_nc_u32_e32 v80, 0x1800, v129
	v_add_nc_u32_e32 v81, 0x2000, v129
	;; [unrolled: 1-line block ×3, first 2 shown]
	ds_read2_b64 v[96:99], v88 offset0:118 offset1:223
	ds_read2_b64 v[120:123], v80 offset0:72 offset1:177
	;; [unrolled: 1-line block ×5, first 2 shown]
	ds_read_b64 v[88:89], v129 offset:13440
.LBB0_15:
	s_or_b32 exec_lo, exec_lo, s1
	s_waitcnt lgkmcnt(0)
	v_sub_f32_e32 v195, v95, v89
	v_add_f32_e32 v197, v89, v95
	v_add_f32_e32 v194, v88, v94
	v_sub_f32_e32 v196, v94, v88
	v_add_f32_e32 v160, v103, v113
	v_mul_f32_e32 v198, 0xbeb8f4ab, v195
	v_mul_f32_e32 v199, 0x3f6eb680, v197
	v_sub_f32_e32 v167, v113, v103
	v_add_f32_e32 v138, v102, v112
	v_mul_f32_e32 v200, 0xbf2c7751, v195
	v_fma_f32 v80, 0x3f6eb680, v194, -v198
	v_fmamk_f32 v81, v196, 0xbeb8f4ab, v199
	v_mul_f32_e32 v201, 0x3f3d2fb0, v197
	v_mul_f32_e32 v147, 0xbf2c7751, v167
	v_sub_f32_e32 v139, v112, v102
	v_mul_f32_e32 v149, 0x3f3d2fb0, v160
	v_add_f32_e32 v80, v92, v80
	v_add_f32_e32 v81, v93, v81
	v_fma_f32 v90, 0x3f3d2fb0, v194, -v200
	v_fmamk_f32 v91, v196, 0xbf2c7751, v201
	v_fma_f32 v140, 0x3f3d2fb0, v138, -v147
	v_sub_f32_e32 v173, v115, v101
	v_fmamk_f32 v141, v139, 0xbf2c7751, v149
	v_mul_f32_e32 v159, 0xbf7ee86f, v167
	v_mul_f32_e32 v161, 0x3dbcf732, v160
	v_add_f32_e32 v168, v101, v115
	v_add_f32_e32 v90, v92, v90
	v_add_f32_e32 v91, v93, v91
	v_add_f32_e32 v80, v140, v80
	v_add_f32_e32 v140, v100, v114
	v_mul_f32_e32 v151, 0xbf65296c, v173
	v_add_f32_e32 v81, v141, v81
	v_fma_f32 v142, 0x3dbcf732, v138, -v159
	v_fmamk_f32 v143, v139, 0xbf7ee86f, v161
	v_sub_f32_e32 v141, v114, v100
	v_mul_f32_e32 v154, 0x3ee437d1, v168
	v_sub_f32_e32 v180, v109, v107
	v_fma_f32 v144, 0x3ee437d1, v140, -v151
	v_add_f32_e32 v90, v142, v90
	v_add_f32_e32 v91, v143, v91
	v_fmamk_f32 v143, v141, 0xbf65296c, v154
	v_mul_f32_e32 v164, 0xbf4c4adb, v173
	v_mul_f32_e32 v165, 0xbf1a4643, v168
	v_add_f32_e32 v142, v106, v108
	v_mul_f32_e32 v156, 0xbf7ee86f, v180
	v_add_f32_e32 v174, v107, v109
	v_add_f32_e32 v80, v144, v80
	;; [unrolled: 1-line block ×3, first 2 shown]
	v_fma_f32 v144, 0xbf1a4643, v140, -v164
	v_fmamk_f32 v145, v141, 0xbf4c4adb, v165
	v_fma_f32 v146, 0x3dbcf732, v142, -v156
	v_sub_f32_e32 v143, v108, v106
	v_mul_f32_e32 v157, 0x3dbcf732, v174
	v_sub_f32_e32 v184, v111, v105
	v_mul_f32_e32 v169, 0xbe3c28d5, v180
	v_mul_f32_e32 v171, 0xbf7ba420, v174
	v_add_f32_e32 v181, v105, v111
	v_add_f32_e32 v90, v144, v90
	;; [unrolled: 1-line block ×4, first 2 shown]
	v_fmamk_f32 v146, v143, 0xbf7ee86f, v157
	v_add_f32_e32 v144, v104, v110
	v_mul_f32_e32 v158, 0xbf763a35, v184
	v_fma_f32 v148, 0xbf7ba420, v142, -v169
	v_fmamk_f32 v150, v143, 0xbe3c28d5, v171
	v_sub_f32_e32 v145, v110, v104
	v_mul_f32_e32 v162, 0xbe8c1d8e, v181
	v_add_f32_e32 v185, v119, v97
	v_fma_f32 v152, 0xbe8c1d8e, v144, -v158
	v_add_f32_e32 v81, v146, v81
	v_add_f32_e32 v90, v148, v90
	;; [unrolled: 1-line block ×3, first 2 shown]
	v_fmamk_f32 v150, v145, 0xbf763a35, v162
	v_sub_f32_e32 v189, v97, v119
	v_mul_f32_e32 v175, 0x3f06c442, v184
	v_mul_f32_e32 v178, 0xbf59a7d5, v181
	v_sub_f32_e32 v148, v96, v118
	v_mul_f32_e32 v166, 0xbf1a4643, v185
	v_add_f32_e32 v80, v152, v80
	v_add_f32_e32 v146, v118, v96
	v_mul_f32_e32 v163, 0xbf4c4adb, v189
	v_fma_f32 v152, 0xbf59a7d5, v144, -v175
	v_fmamk_f32 v153, v145, 0x3f06c442, v178
	v_add_f32_e32 v81, v150, v81
	v_fmamk_f32 v150, v148, 0xbf4c4adb, v166
	v_mul_f32_e32 v179, 0x3f763a35, v189
	v_sub_f32_e32 v192, v99, v117
	v_add_f32_e32 v190, v117, v99
	v_fma_f32 v155, 0xbf1a4643, v146, -v163
	v_add_f32_e32 v90, v152, v90
	v_add_f32_e32 v91, v153, v91
	;; [unrolled: 1-line block ×3, first 2 shown]
	v_mul_f32_e32 v183, 0xbe8c1d8e, v185
	v_fma_f32 v153, 0xbe8c1d8e, v146, -v179
	v_add_f32_e32 v150, v116, v98
	v_mul_f32_e32 v170, 0xbf06c442, v192
	v_sub_f32_e32 v152, v98, v116
	v_mul_f32_e32 v172, 0xbf59a7d5, v190
	v_mul_f32_e32 v182, 0x3f65296c, v192
	v_add_f32_e32 v80, v155, v80
	v_fmamk_f32 v155, v148, 0x3f763a35, v183
	v_fma_f32 v176, 0xbf59a7d5, v150, -v170
	v_add_f32_e32 v90, v153, v90
	v_fmamk_f32 v153, v152, 0xbf06c442, v172
	v_fma_f32 v177, 0x3ee437d1, v150, -v182
	v_mul_f32_e32 v186, 0x3ee437d1, v190
	v_sub_f32_e32 v193, v121, v123
	v_add_f32_e32 v191, v123, v121
	v_add_f32_e32 v91, v155, v91
	;; [unrolled: 1-line block ×5, first 2 shown]
	v_fmamk_f32 v202, v152, 0x3f65296c, v186
	v_add_f32_e32 v153, v122, v120
	v_sub_f32_e32 v155, v120, v122
	v_mul_f32_e32 v176, 0xbe3c28d5, v193
	v_mul_f32_e32 v177, 0xbf7ba420, v191
	;; [unrolled: 1-line block ×4, first 2 shown]
	v_add_f32_e32 v91, v202, v91
	v_fma_f32 v202, 0xbf7ba420, v153, -v176
	v_fmamk_f32 v203, v155, 0xbe3c28d5, v177
	v_fma_f32 v204, 0x3f6eb680, v153, -v187
	v_fmamk_f32 v205, v155, 0x3eb8f4ab, v188
	v_add_f32_e32 v80, v202, v80
	v_add_f32_e32 v81, v203, v81
	;; [unrolled: 1-line block ×4, first 2 shown]
	s_barrier
	buffer_gl0_inv
	s_and_saveexec_b32 s1, vcc_lo
	s_cbranch_execz .LBB0_17
; %bb.16:
	v_add_f32_e32 v94, v94, v92
	v_add_f32_e32 v95, v95, v93
	v_mul_f32_e32 v202, 0x3e3c28d5, v141
	v_mul_f32_e32 v203, 0x3f763a35, v143
	v_mul_f32_e32 v204, 0x3f2c7751, v145
	v_add_f32_e32 v94, v112, v94
	v_add_f32_e32 v95, v113, v95
	v_mul_f32_e32 v112, 0xbf65296c, v195
	v_mul_f32_e32 v113, 0xbe3c28d5, v195
	v_mul_f32_e32 v205, 0xbf4c4adb, v167
	;; [unrolled: 5-line block ×4, first 2 shown]
	v_add_f32_e32 v94, v110, v94
	v_add_f32_e32 v95, v111, v95
	v_fmamk_f32 v111, v196, 0x3f7ee86f, v108
	v_fmac_f32_e32 v108, 0xbf7ee86f, v196
	v_mul_f32_e32 v209, 0x3f2c7751, v184
	v_add_f32_e32 v94, v96, v94
	v_add_f32_e32 v95, v97, v95
	v_mul_f32_e32 v96, 0xbf2c7751, v196
	v_mul_f32_e32 v97, 0x3f3d2fb0, v194
	v_add_f32_e32 v111, v93, v111
	v_add_f32_e32 v94, v98, v94
	v_add_f32_e32 v95, v99, v95
	v_mul_f32_e32 v99, 0x3f6eb680, v194
	v_sub_f32_e32 v96, v201, v96
	v_add_f32_e32 v97, v97, v200
	v_add_f32_e32 v94, v120, v94
	;; [unrolled: 1-line block ×3, first 2 shown]
	v_mul_f32_e32 v98, 0xbeb8f4ab, v196
	v_add_f32_e32 v99, v99, v198
	v_fma_f32 v120, 0x3ee437d1, v194, -v112
	v_add_f32_e32 v94, v122, v94
	v_add_f32_e32 v95, v123, v95
	v_fmac_f32_e32 v112, 0x3ee437d1, v194
	v_fmamk_f32 v121, v194, 0xbf59a7d5, v115
	v_fma_f32 v115, 0xbf59a7d5, v194, -v115
	v_add_f32_e32 v94, v116, v94
	v_add_f32_e32 v95, v117, v95
	v_mul_f32_e32 v116, 0xbf763a35, v195
	v_mul_f32_e32 v117, 0xbf7ee86f, v195
	v_add_f32_e32 v201, v93, v108
	v_add_f32_e32 v94, v118, v94
	;; [unrolled: 1-line block ×3, first 2 shown]
	v_fma_f32 v118, 0xbf7ba420, v194, -v113
	v_fmac_f32_e32 v113, 0xbf7ba420, v194
	v_fma_f32 v119, 0xbf1a4643, v194, -v114
	v_add_f32_e32 v94, v104, v94
	v_add_f32_e32 v95, v105, v95
	v_mul_f32_e32 v104, 0xbf65296c, v196
	v_fmac_f32_e32 v114, 0xbf1a4643, v194
	v_fmamk_f32 v122, v194, 0xbe8c1d8e, v116
	v_add_f32_e32 v94, v106, v94
	v_add_f32_e32 v95, v107, v95
	v_fmamk_f32 v105, v197, 0x3ee437d1, v104
	v_mul_f32_e32 v106, 0xbf59a7d5, v197
	v_mul_f32_e32 v107, 0xbe8c1d8e, v197
	v_add_f32_e32 v94, v100, v94
	v_add_f32_e32 v95, v101, v95
	v_mul_f32_e32 v100, 0xbe3c28d5, v196
	v_fma_f32 v116, 0xbe8c1d8e, v194, -v116
	v_fmamk_f32 v123, v194, 0x3dbcf732, v117
	v_add_f32_e32 v94, v102, v94
	v_mul_f32_e32 v102, 0xbf4c4adb, v196
	v_fma_f32 v117, 0x3dbcf732, v194, -v117
	v_mul_f32_e32 v108, 0xbf4c4adb, v139
	v_add_f32_e32 v95, v103, v95
	v_sub_f32_e32 v98, v199, v98
	v_fmamk_f32 v101, v197, 0xbf7ba420, v100
	v_fma_f32 v100, 0xbf7ba420, v197, -v100
	v_fmamk_f32 v103, v197, 0xbf1a4643, v102
	v_fma_f32 v102, 0xbf1a4643, v197, -v102
	v_fma_f32 v104, 0x3ee437d1, v197, -v104
	v_fmamk_f32 v109, v196, 0x3f06c442, v106
	v_fmac_f32_e32 v106, 0xbf06c442, v196
	v_fmamk_f32 v110, v196, 0x3f763a35, v107
	v_fmac_f32_e32 v107, 0xbf763a35, v196
	v_add_f32_e32 v105, v93, v105
	v_add_f32_e32 v120, v92, v120
	;; [unrolled: 1-line block ×15, first 2 shown]
	v_fmamk_f32 v92, v160, 0xbf1a4643, v108
	v_add_f32_e32 v103, v93, v103
	v_add_f32_e32 v101, v93, v101
	;; [unrolled: 1-line block ×12, first 2 shown]
	v_fmamk_f32 v93, v168, 0xbf7ba420, v202
	v_add_f32_e32 v88, v88, v94
	v_mul_f32_e32 v210, 0xbeb8f4ab, v189
	v_mul_f32_e32 v211, 0xbf7ee86f, v192
	;; [unrolled: 1-line block ×3, first 2 shown]
	v_add_f32_e32 v92, v93, v92
	v_fmamk_f32 v93, v174, 0xbe8c1d8e, v203
	v_mul_f32_e32 v213, 0xbf06c442, v193
	v_mul_f32_e32 v104, 0x3f763a35, v139
	v_add_f32_e32 v89, v89, v95
	v_mul_f32_e32 v105, 0xbf06c442, v143
	v_add_f32_e32 v92, v93, v92
	v_fmamk_f32 v93, v181, 0x3f3d2fb0, v204
	v_mul_f32_e32 v106, 0x3f7ee86f, v145
	v_mul_f32_e32 v107, 0x3f763a35, v167
	;; [unrolled: 1-line block ×4, first 2 shown]
	v_add_f32_e32 v92, v93, v92
	v_fma_f32 v93, 0xbf1a4643, v138, -v205
	v_mul_f32_e32 v216, 0xbf06c442, v180
	v_mul_f32_e32 v217, 0x3f7ee86f, v184
	v_mul_f32_e32 v218, 0xbf2c7751, v189
	v_mul_f32_e32 v219, 0xbe3c28d5, v192
	v_add_f32_e32 v93, v93, v120
	v_mul_f32_e32 v120, 0xbeb8f4ab, v148
	v_mul_f32_e32 v220, 0x3f65296c, v155
	;; [unrolled: 1-line block ×5, first 2 shown]
	v_fmamk_f32 v94, v185, 0x3f6eb680, v120
	v_mul_f32_e32 v222, 0xbf4c4adb, v145
	v_mul_f32_e32 v223, 0x3eb8f4ab, v167
	;; [unrolled: 1-line block ×3, first 2 shown]
	v_fmamk_f32 v97, v168, 0xbf59a7d5, v99
	v_add_f32_e32 v92, v94, v92
	v_fma_f32 v94, 0xbf7ba420, v140, -v206
	v_fma_f32 v99, 0xbf59a7d5, v168, -v99
	v_mul_f32_e32 v232, 0x3f7ee86f, v193
	v_mul_f32_e32 v234, 0x3f7ee86f, v189
	;; [unrolled: 1-line block ×3, first 2 shown]
	v_add_f32_e32 v93, v94, v93
	v_fmamk_f32 v94, v190, 0x3dbcf732, v207
	v_mul_f32_e32 v236, 0xbf1a4643, v191
	v_mul_f32_e32 v237, 0xbf4c4adb, v193
	;; [unrolled: 1-line block ×4, first 2 shown]
	v_add_f32_e32 v92, v94, v92
	v_fma_f32 v94, 0xbe8c1d8e, v142, -v208
	v_mul_f32_e32 v240, 0x3f6eb680, v174
	v_mul_f32_e32 v233, 0xbf763a35, v193
	v_mul_f32_e32 v241, 0xbf59a7d5, v185
	v_mul_f32_e32 v242, 0xbf1a4643, v190
	v_add_f32_e32 v93, v94, v93
	v_fma_f32 v94, 0x3f3d2fb0, v144, -v209
	v_mul_f32_e32 v243, 0x3f3d2fb0, v191
	v_mul_f32_e32 v193, 0x3f2c7751, v193
	v_fma_f32 v108, 0xbf1a4643, v160, -v108
	v_fmac_f32_e32 v205, 0xbf1a4643, v138
	v_add_f32_e32 v93, v94, v93
	v_fma_f32 v94, 0x3f6eb680, v146, -v210
	v_fmac_f32_e32 v206, 0xbf7ba420, v140
	v_add_f32_e32 v108, v108, v194
	v_fmac_f32_e32 v208, 0xbe8c1d8e, v142
	v_fmac_f32_e32 v209, 0x3f3d2fb0, v144
	v_add_f32_e32 v93, v94, v93
	v_fma_f32 v94, 0x3dbcf732, v150, -v211
	v_fmac_f32_e32 v210, 0x3f6eb680, v146
	v_fmac_f32_e32 v211, 0x3dbcf732, v150
	v_add_f32_e32 v94, v94, v93
	v_fmamk_f32 v93, v191, 0xbf59a7d5, v212
	v_add_f32_e32 v93, v93, v92
	v_fma_f32 v92, 0xbf59a7d5, v153, -v213
	v_fmac_f32_e32 v213, 0xbf59a7d5, v153
	v_add_f32_e32 v92, v92, v94
	v_fmamk_f32 v94, v160, 0xbe8c1d8e, v104
	v_fma_f32 v104, 0xbe8c1d8e, v160, -v104
	v_add_f32_e32 v94, v94, v103
	v_mul_f32_e32 v103, 0xbeb8f4ab, v141
	v_add_f32_e32 v102, v104, v102
	v_fma_f32 v104, 0xbf59a7d5, v174, -v105
	v_fmamk_f32 v95, v168, 0x3f6eb680, v103
	v_fma_f32 v103, 0x3f6eb680, v168, -v103
	v_add_f32_e32 v94, v95, v94
	v_fmamk_f32 v95, v174, 0xbf59a7d5, v105
	v_add_f32_e32 v102, v103, v102
	v_add_f32_e32 v94, v95, v94
	v_fmamk_f32 v95, v181, 0x3dbcf732, v106
	v_add_f32_e32 v102, v104, v102
	v_fma_f32 v104, 0x3dbcf732, v181, -v106
	v_add_f32_e32 v94, v95, v94
	v_fma_f32 v95, 0xbe8c1d8e, v138, -v107
	v_fmac_f32_e32 v107, 0xbe8c1d8e, v138
	v_add_f32_e32 v102, v104, v102
	v_add_f32_e32 v95, v95, v119
	v_mul_f32_e32 v119, 0xbf2c7751, v148
	v_add_f32_e32 v103, v107, v114
	v_fmamk_f32 v107, v141, 0xbf763a35, v239
	v_fmac_f32_e32 v239, 0x3f763a35, v141
	v_fmamk_f32 v96, v185, 0x3f3d2fb0, v119
	v_fma_f32 v104, 0x3f3d2fb0, v185, -v119
	v_mul_f32_e32 v119, 0xbf59a7d5, v160
	v_add_f32_e32 v94, v96, v94
	v_fma_f32 v96, 0x3f6eb680, v140, -v214
	v_fmac_f32_e32 v214, 0x3f6eb680, v140
	v_add_f32_e32 v102, v104, v102
	v_fma_f32 v104, 0xbf7ba420, v190, -v215
	v_add_f32_e32 v95, v96, v95
	v_fmamk_f32 v96, v190, 0xbf7ba420, v215
	v_add_f32_e32 v103, v214, v103
	v_add_f32_e32 v102, v104, v102
	v_mul_f32_e32 v214, 0x3f3d2fb0, v168
	v_mul_f32_e32 v215, 0x3ee437d1, v174
	v_add_f32_e32 v94, v96, v94
	v_fma_f32 v96, 0xbf59a7d5, v142, -v216
	v_fmac_f32_e32 v216, 0xbf59a7d5, v142
	v_fmamk_f32 v105, v141, 0xbf2c7751, v214
	v_fmac_f32_e32 v214, 0x3f2c7751, v141
	v_add_f32_e32 v95, v96, v95
	v_fma_f32 v96, 0x3dbcf732, v144, -v217
	v_add_f32_e32 v103, v216, v103
	v_fmac_f32_e32 v217, 0x3dbcf732, v144
	v_mul_f32_e32 v216, 0x3f06c442, v167
	v_add_f32_e32 v95, v96, v95
	v_fma_f32 v96, 0x3f3d2fb0, v146, -v218
	v_add_f32_e32 v103, v217, v103
	v_fmac_f32_e32 v218, 0x3f3d2fb0, v146
	v_mul_f32_e32 v217, 0x3f2c7751, v173
	;; [unrolled: 5-line block ×3, first 2 shown]
	v_add_f32_e32 v96, v96, v95
	v_fmamk_f32 v95, v191, 0x3ee437d1, v220
	v_add_f32_e32 v104, v219, v103
	v_fma_f32 v103, 0x3ee437d1, v191, -v220
	v_mul_f32_e32 v219, 0xbf65296c, v180
	v_mul_f32_e32 v220, 0x3f6eb680, v190
	v_add_f32_e32 v95, v95, v94
	v_fma_f32 v94, 0x3ee437d1, v153, -v221
	v_fmac_f32_e32 v221, 0x3ee437d1, v153
	v_add_f32_e32 v103, v103, v102
	v_add_f32_e32 v94, v94, v96
	v_fmamk_f32 v96, v160, 0x3f6eb680, v98
	v_fma_f32 v98, 0x3f6eb680, v160, -v98
	v_add_f32_e32 v102, v221, v104
	v_fmamk_f32 v104, v139, 0xbf06c442, v119
	v_mul_f32_e32 v221, 0xbe3c28d5, v184
	v_add_f32_e32 v96, v96, v101
	v_mul_f32_e32 v101, 0x3f2c7751, v143
	v_add_f32_e32 v98, v98, v100
	v_fma_f32 v100, 0xbf1a4643, v181, -v222
	v_add_f32_e32 v104, v104, v110
	v_add_f32_e32 v96, v97, v96
	v_fmamk_f32 v97, v174, 0x3f3d2fb0, v101
	v_add_f32_e32 v98, v99, v98
	v_fma_f32 v99, 0x3f3d2fb0, v174, -v101
	v_add_f32_e32 v104, v105, v104
	v_fmamk_f32 v105, v143, 0x3f65296c, v215
	v_add_f32_e32 v96, v97, v96
	v_fmamk_f32 v97, v181, 0xbf1a4643, v222
	v_add_f32_e32 v98, v99, v98
	v_mul_f32_e32 v222, 0x3dbcf732, v168
	v_add_f32_e32 v104, v105, v104
	v_fmamk_f32 v105, v138, 0xbf59a7d5, v216
	v_add_f32_e32 v96, v97, v96
	v_fma_f32 v97, 0x3f6eb680, v138, -v223
	v_fmac_f32_e32 v223, 0x3f6eb680, v138
	v_add_f32_e32 v98, v100, v98
	v_add_f32_e32 v105, v105, v122
	v_mul_f32_e32 v122, 0xbf7ba420, v181
	v_add_f32_e32 v97, v97, v118
	v_mul_f32_e32 v118, 0x3f65296c, v148
	v_add_f32_e32 v99, v223, v113
	v_fmamk_f32 v101, v141, 0x3f7ee86f, v222
	v_fmamk_f32 v106, v145, 0x3e3c28d5, v122
	v_mul_f32_e32 v223, 0xbf1a4643, v174
	v_fmamk_f32 v224, v185, 0x3ee437d1, v118
	v_fma_f32 v100, 0x3ee437d1, v185, -v118
	v_mul_f32_e32 v118, 0x3ee437d1, v160
	v_add_f32_e32 v104, v106, v104
	v_fmamk_f32 v106, v140, 0x3f3d2fb0, v217
	v_add_f32_e32 v96, v224, v96
	v_mul_f32_e32 v224, 0xbf06c442, v173
	v_add_f32_e32 v98, v100, v98
	v_add_f32_e32 v110, v205, v112
	;; [unrolled: 1-line block ×3, first 2 shown]
	v_fmamk_f32 v106, v148, 0xbf7ee86f, v218
	v_fma_f32 v225, 0xbf59a7d5, v140, -v224
	v_fmac_f32_e32 v224, 0xbf59a7d5, v140
	v_add_f32_e32 v110, v206, v110
	v_mul_f32_e32 v112, 0x3dbcf732, v138
	v_add_f32_e32 v104, v106, v104
	v_add_f32_e32 v97, v225, v97
	v_mul_f32_e32 v225, 0x3f2c7751, v180
	v_add_f32_e32 v99, v224, v99
	v_mul_f32_e32 v224, 0x3f6eb680, v181
	v_fmamk_f32 v106, v142, 0x3ee437d1, v219
	v_add_f32_e32 v110, v208, v110
	v_fma_f32 v226, 0x3f3d2fb0, v142, -v225
	v_fmac_f32_e32 v225, 0x3f3d2fb0, v142
	v_add_f32_e32 v112, v112, v159
	v_add_f32_e32 v105, v106, v105
	v_fmamk_f32 v106, v152, 0x3eb8f4ab, v220
	v_add_f32_e32 v97, v226, v97
	v_mul_f32_e32 v226, 0xbf763a35, v152
	v_add_f32_e32 v99, v225, v99
	v_mul_f32_e32 v225, 0xbf7ba420, v185
	v_add_f32_e32 v104, v106, v104
	v_fmamk_f32 v106, v144, 0xbf7ba420, v221
	v_fmamk_f32 v227, v190, 0xbe8c1d8e, v226
	v_fma_f32 v100, 0xbe8c1d8e, v190, -v226
	v_mul_f32_e32 v226, 0x3f65296c, v167
	v_mul_f32_e32 v167, 0xbe3c28d5, v167
	v_add_f32_e32 v105, v106, v105
	v_add_f32_e32 v96, v227, v96
	v_mul_f32_e32 v227, 0xbf4c4adb, v184
	v_add_f32_e32 v98, v100, v98
	v_fmamk_f32 v106, v146, 0x3dbcf732, v234
	v_add_f32_e32 v110, v209, v110
	v_mul_f32_e32 v113, 0xbf1a4643, v140
	v_fma_f32 v228, 0xbf1a4643, v144, -v227
	v_fmac_f32_e32 v227, 0xbf1a4643, v144
	v_add_f32_e32 v105, v106, v105
	v_fmamk_f32 v106, v150, 0x3f6eb680, v235
	v_add_f32_e32 v112, v112, v196
	v_add_f32_e32 v97, v228, v97
	v_mul_f32_e32 v228, 0x3f65296c, v189
	v_add_f32_e32 v99, v227, v99
	v_mul_f32_e32 v227, 0xbf7ee86f, v173
	v_add_f32_e32 v106, v106, v105
	v_fmamk_f32 v105, v155, 0x3f4c4adb, v236
	v_fma_f32 v229, 0x3ee437d1, v146, -v228
	v_fmac_f32_e32 v228, 0x3ee437d1, v146
	v_mul_f32_e32 v173, 0x3f763a35, v173
	v_add_f32_e32 v113, v113, v164
	v_add_f32_e32 v105, v105, v104
	;; [unrolled: 1-line block ×3, first 2 shown]
	v_mul_f32_e32 v229, 0xbf763a35, v192
	v_add_f32_e32 v99, v228, v99
	v_mul_f32_e32 v228, 0x3f4c4adb, v180
	v_fmamk_f32 v104, v153, 0xbf1a4643, v237
	v_mul_f32_e32 v180, 0x3eb8f4ab, v180
	v_fma_f32 v230, 0xbe8c1d8e, v150, -v229
	v_fmac_f32_e32 v229, 0xbe8c1d8e, v150
	v_add_f32_e32 v112, v113, v112
	v_add_f32_e32 v104, v104, v106
	v_fmamk_f32 v106, v139, 0x3e3c28d5, v238
	v_add_f32_e32 v230, v230, v97
	v_fmamk_f32 v97, v191, 0x3dbcf732, v231
	v_add_f32_e32 v100, v229, v99
	v_fma_f32 v99, 0x3dbcf732, v191, -v231
	v_mul_f32_e32 v229, 0xbeb8f4ab, v184
	v_mul_f32_e32 v231, 0x3f2c7751, v192
	v_add_f32_e32 v97, v97, v96
	v_fma_f32 v96, 0x3dbcf732, v153, -v232
	v_fmac_f32_e32 v232, 0x3dbcf732, v153
	v_add_f32_e32 v99, v99, v98
	v_add_f32_e32 v106, v106, v111
	v_mul_f32_e32 v184, 0xbf65296c, v184
	v_add_f32_e32 v96, v96, v230
	v_add_f32_e32 v98, v232, v100
	v_fmamk_f32 v100, v139, 0xbf65296c, v118
	v_mul_f32_e32 v230, 0xbe3c28d5, v189
	v_mul_f32_e32 v232, 0xbe8c1d8e, v191
	v_add_f32_e32 v106, v107, v106
	v_fmamk_f32 v107, v143, 0xbeb8f4ab, v240
	v_add_f32_e32 v100, v100, v109
	v_mul_f32_e32 v189, 0xbf06c442, v189
	v_mul_f32_e32 v192, 0x3f4c4adb, v192
	;; [unrolled: 1-line block ×3, first 2 shown]
	v_add_f32_e32 v106, v107, v106
	v_add_f32_e32 v100, v101, v100
	v_fmamk_f32 v101, v143, 0xbf4c4adb, v223
	v_fmamk_f32 v107, v138, 0xbf7ba420, v167
	v_add_f32_e32 v113, v113, v169
	v_fmac_f32_e32 v118, 0x3f65296c, v139
	v_fmac_f32_e32 v222, 0xbf7ee86f, v141
	v_add_f32_e32 v100, v101, v100
	v_fmamk_f32 v101, v145, 0x3eb8f4ab, v224
	v_add_f32_e32 v107, v107, v123
	v_mul_f32_e32 v123, 0x3ee437d1, v181
	v_add_f32_e32 v112, v113, v112
	v_mul_f32_e32 v113, 0xbf59a7d5, v144
	v_add_f32_e32 v100, v101, v100
	v_fmamk_f32 v101, v148, 0x3e3c28d5, v225
	v_fmac_f32_e32 v223, 0x3f4c4adb, v143
	v_fmac_f32_e32 v224, 0xbeb8f4ab, v145
	v_add_f32_e32 v113, v113, v175
	v_fmac_f32_e32 v225, 0xbe3c28d5, v148
	v_add_f32_e32 v100, v101, v100
	v_fmamk_f32 v101, v138, 0x3ee437d1, v226
	v_fmac_f32_e32 v119, 0x3f06c442, v139
	v_add_f32_e32 v112, v113, v112
	v_mul_f32_e32 v113, 0xbe8c1d8e, v146
	v_fmac_f32_e32 v238, 0xbe3c28d5, v139
	v_add_f32_e32 v101, v101, v121
	v_mul_f32_e32 v121, 0x3f3d2fb0, v190
	v_fmac_f32_e32 v215, 0xbf65296c, v143
	v_add_f32_e32 v113, v113, v179
	v_fmac_f32_e32 v240, 0x3eb8f4ab, v143
	v_fmac_f32_e32 v122, 0xbe3c28d5, v145
	v_fmamk_f32 v109, v152, 0xbf2c7751, v121
	v_fmac_f32_e32 v121, 0x3f2c7751, v152
	v_fmac_f32_e32 v218, 0x3f7ee86f, v148
	;; [unrolled: 1-line block ×4, first 2 shown]
	v_add_f32_e32 v100, v109, v100
	v_fmamk_f32 v109, v140, 0x3dbcf732, v227
	v_add_f32_e32 v101, v109, v101
	v_fmamk_f32 v109, v142, 0xbf1a4643, v228
	;; [unrolled: 2-line block ×6, first 2 shown]
	v_fmac_f32_e32 v232, 0xbf763a35, v155
	v_add_f32_e32 v101, v101, v100
	v_fmamk_f32 v100, v153, 0xbe8c1d8e, v233
	v_add_f32_e32 v100, v100, v109
	v_fmamk_f32 v109, v145, 0x3f65296c, v123
	v_fmac_f32_e32 v123, 0xbf65296c, v145
	v_add_f32_e32 v106, v109, v106
	v_fmamk_f32 v109, v140, 0xbe8c1d8e, v173
	v_add_f32_e32 v107, v109, v107
	v_fmamk_f32 v109, v148, 0x3f06c442, v241
	;; [unrolled: 5-line block ×4, first 2 shown]
	v_add_f32_e32 v107, v109, v107
	v_fmamk_f32 v109, v150, 0xbf1a4643, v192
	v_add_f32_e32 v109, v109, v107
	v_fmamk_f32 v107, v155, 0xbf2c7751, v243
	v_fmac_f32_e32 v243, 0x3f2c7751, v155
	v_add_f32_e32 v107, v107, v106
	v_fmamk_f32 v106, v153, 0x3f3d2fb0, v193
	v_add_f32_e32 v106, v106, v109
	v_fma_f32 v109, 0xbf7ba420, v168, -v202
	v_add_f32_e32 v108, v109, v108
	v_fma_f32 v109, 0xbe8c1d8e, v174, -v203
	;; [unrolled: 2-line block ×4, first 2 shown]
	v_mul_f32_e32 v120, 0x3ee437d1, v140
	v_add_f32_e32 v108, v109, v108
	v_fma_f32 v109, 0x3dbcf732, v190, -v207
	v_add_f32_e32 v120, v120, v151
	v_add_f32_e32 v108, v109, v108
	;; [unrolled: 1-line block ×3, first 2 shown]
	v_fma_f32 v110, 0xbf59a7d5, v191, -v212
	v_add_f32_e32 v111, v211, v109
	v_add_f32_e32 v109, v110, v108
	v_mul_f32_e32 v110, 0xbf7ee86f, v139
	v_add_f32_e32 v108, v213, v111
	v_mul_f32_e32 v111, 0xbf4c4adb, v141
	v_sub_f32_e32 v110, v161, v110
	v_sub_f32_e32 v111, v165, v111
	v_add_f32_e32 v110, v110, v195
	v_add_f32_e32 v110, v111, v110
	v_mul_f32_e32 v111, 0xbe3c28d5, v143
	v_sub_f32_e32 v111, v171, v111
	v_add_f32_e32 v110, v111, v110
	v_mul_f32_e32 v111, 0x3f06c442, v145
	v_sub_f32_e32 v111, v178, v111
	;; [unrolled: 3-line block ×4, first 2 shown]
	v_add_f32_e32 v110, v111, v110
	v_add_f32_e32 v111, v113, v112
	v_mul_f32_e32 v112, 0x3ee437d1, v150
	v_mul_f32_e32 v113, 0x3eb8f4ab, v155
	v_add_f32_e32 v112, v112, v182
	v_sub_f32_e32 v113, v188, v113
	v_add_f32_e32 v112, v112, v111
	v_mul_f32_e32 v111, 0x3f6eb680, v153
	v_add_f32_e32 v114, v111, v187
	v_add_f32_e32 v111, v113, v110
	v_mul_f32_e32 v113, 0xbf65296c, v141
	v_add_f32_e32 v110, v114, v112
	v_mul_f32_e32 v112, 0xbf2c7751, v139
	v_sub_f32_e32 v113, v154, v113
	v_mul_f32_e32 v114, 0x3f3d2fb0, v138
	v_fma_f32 v139, 0x3f3d2fb0, v153, -v193
	v_sub_f32_e32 v112, v149, v112
	v_add_f32_e32 v114, v114, v147
	v_add_f32_e32 v112, v112, v197
	;; [unrolled: 1-line block ×4, first 2 shown]
	v_mul_f32_e32 v113, 0xbf7ee86f, v143
	v_add_f32_e32 v114, v120, v114
	v_mul_f32_e32 v120, 0x3dbcf732, v142
	v_sub_f32_e32 v113, v157, v113
	v_add_f32_e32 v120, v120, v156
	v_add_f32_e32 v112, v113, v112
	v_mul_f32_e32 v113, 0xbf763a35, v145
	v_sub_f32_e32 v113, v162, v113
	v_add_f32_e32 v112, v113, v112
	v_mul_f32_e32 v113, 0xbf4c4adb, v148
	v_sub_f32_e32 v113, v166, v113
	v_add_f32_e32 v112, v113, v112
	v_add_f32_e32 v113, v120, v114
	v_mul_f32_e32 v114, 0xbe8c1d8e, v144
	v_mul_f32_e32 v120, 0xbf06c442, v152
	v_add_f32_e32 v114, v114, v158
	v_sub_f32_e32 v120, v172, v120
	v_add_f32_e32 v113, v114, v113
	v_mul_f32_e32 v114, 0xbf1a4643, v146
	v_add_f32_e32 v112, v120, v112
	v_mul_f32_e32 v120, 0xbe3c28d5, v155
	v_add_f32_e32 v114, v114, v163
	v_sub_f32_e32 v120, v177, v120
	v_add_f32_e32 v113, v114, v113
	v_mul_f32_e32 v114, 0xbf59a7d5, v150
	v_add_f32_e32 v114, v114, v170
	v_add_f32_e32 v114, v114, v113
	v_mul_f32_e32 v113, 0xbf7ba420, v153
	v_add_f32_e32 v147, v113, v176
	v_add_f32_e32 v113, v120, v112
	v_fma_f32 v120, 0xbe8c1d8e, v153, -v233
	v_add_f32_e32 v112, v147, v114
	v_add_f32_e32 v114, v118, v199
	v_fma_f32 v118, 0x3ee437d1, v138, -v226
	;; [unrolled: 3-line block ×6, first 2 shown]
	v_add_f32_e32 v114, v121, v114
	v_fma_f32 v121, 0x3ee437d1, v142, -v219
	v_add_f32_e32 v115, v118, v115
	v_fma_f32 v118, 0x3f3d2fb0, v150, -v231
	v_add_f32_e32 v118, v118, v115
	v_add_f32_e32 v115, v232, v114
	;; [unrolled: 1-line block ×4, first 2 shown]
	v_fma_f32 v119, 0xbf59a7d5, v138, -v216
	v_fma_f32 v120, 0x3f3d2fb0, v140, -v217
	v_add_f32_e32 v118, v214, v118
	v_add_f32_e32 v116, v119, v116
	v_fma_f32 v119, 0xbf7ba420, v138, -v167
	v_add_f32_e32 v118, v215, v118
	v_add_f32_e32 v116, v120, v116
	v_add_f32_e32 v120, v238, v201
	v_add_f32_e32 v117, v119, v117
	v_fma_f32 v119, 0xbe8c1d8e, v140, -v173
	v_add_f32_e32 v118, v122, v118
	v_add_f32_e32 v116, v121, v116
	;; [unrolled: 1-line block ×3, first 2 shown]
	v_fma_f32 v121, 0xbf7ba420, v144, -v221
	v_add_f32_e32 v117, v119, v117
	v_fma_f32 v119, 0x3f6eb680, v142, -v180
	v_add_f32_e32 v118, v218, v118
	v_add_f32_e32 v120, v240, v120
	;; [unrolled: 1-line block ×3, first 2 shown]
	v_fma_f32 v121, 0x3dbcf732, v146, -v234
	v_add_f32_e32 v117, v119, v117
	v_fma_f32 v119, 0x3ee437d1, v144, -v184
	v_add_f32_e32 v120, v123, v120
	v_mul_lo_u16 v122, v128, 17
	v_add_f32_e32 v116, v121, v116
	v_fma_f32 v121, 0x3f6eb680, v150, -v235
	v_add_f32_e32 v117, v119, v117
	v_fma_f32 v119, 0xbf59a7d5, v146, -v189
	v_add_f32_e32 v120, v241, v120
	v_mov_b32_e32 v123, 3
	v_add_f32_e32 v118, v220, v118
	v_add_f32_e32 v116, v121, v116
	;; [unrolled: 1-line block ×3, first 2 shown]
	v_fma_f32 v119, 0xbf1a4643, v150, -v192
	v_fma_f32 v121, 0xbf1a4643, v153, -v237
	v_add_f32_e32 v120, v242, v120
	v_lshlrev_b32_sdwa v122, v123, v122 dst_sel:DWORD dst_unused:UNUSED_PAD src0_sel:DWORD src1_sel:WORD_0
	v_add_f32_e32 v138, v119, v117
	v_add_f32_e32 v117, v236, v118
	;; [unrolled: 1-line block ×5, first 2 shown]
	ds_write2_b64 v122, v[88:89], v[112:113] offset1:1
	ds_write2_b64 v122, v[110:111], v[108:109] offset0:2 offset1:3
	ds_write2_b64 v122, v[106:107], v[104:105] offset0:4 offset1:5
	;; [unrolled: 1-line block ×7, first 2 shown]
	ds_write_b64 v122, v[80:81] offset:128
.LBB0_17:
	s_or_b32 exec_lo, exec_lo, s1
	v_add_nc_u32_e32 v93, 0xc00, v129
	v_add_nc_u32_e32 v92, 0x2400, v129
	;; [unrolled: 1-line block ×3, first 2 shown]
	s_waitcnt lgkmcnt(0)
	s_barrier
	buffer_gl0_inv
	ds_read2_b64 v[98:101], v93 offset0:92 offset1:211
	ds_read2_b64 v[102:105], v92 offset0:38 offset1:157
	;; [unrolled: 1-line block ×3, first 2 shown]
	v_add_nc_u32_e32 v97, 0x400, v129
	v_add_nc_u32_e32 v95, 0x2c00, v129
	;; [unrolled: 1-line block ×3, first 2 shown]
	ds_read2_b64 v[110:113], v129 offset1:119
	ds_read_b64 v[88:89], v129 offset:13328
	ds_read2_b64 v[114:117], v97 offset0:110 offset1:229
	ds_read2_b64 v[118:121], v95 offset0:20 offset1:139
	ds_read2_b64 v[138:141], v96 offset0:56 offset1:175
	s_waitcnt lgkmcnt(0)
	s_barrier
	buffer_gl0_inv
	v_mul_f32_e32 v122, v25, v101
	v_mul_f32_e32 v25, v25, v100
	;; [unrolled: 1-line block ×8, first 2 shown]
	v_fmac_f32_e32 v122, v24, v100
	v_fma_f32 v24, v24, v101, -v25
	v_fmac_f32_e32 v123, v26, v102
	v_fma_f32 v25, v26, v103, -v27
	;; [unrolled: 2-line block ×3, first 2 shown]
	v_fma_f32 v28, v30, v105, -v31
	v_mul_f32_e32 v103, v1, v141
	v_mul_f32_e32 v1, v1, v140
	;; [unrolled: 1-line block ×8, first 2 shown]
	v_fmac_f32_e32 v103, v0, v140
	v_fma_f32 v106, v0, v141, -v1
	v_add_f32_e32 v0, v122, v123
	v_add_f32_e32 v1, v110, v122
	v_fma_f32 v89, v2, v89, -v3
	v_add_f32_e32 v3, v24, v25
	v_mul_f32_e32 v27, v9, v109
	v_fmac_f32_e32 v143, v30, v104
	v_mul_f32_e32 v29, v11, v119
	v_mul_f32_e32 v11, v11, v118
	v_fma_f32 v102, v4, v139, -v5
	v_fmac_f32_e32 v101, v6, v120
	v_fma_f32 v104, v6, v121, -v7
	v_fmac_f32_e32 v105, v2, v88
	v_fma_f32 v0, -0.5, v0, v110
	v_sub_f32_e32 v5, v24, v25
	v_add_f32_e32 v2, v1, v123
	v_add_f32_e32 v6, v111, v24
	v_fma_f32 v1, -0.5, v3, v111
	v_sub_f32_e32 v7, v122, v123
	v_mul_f32_e32 v9, v9, v108
	v_fmac_f32_e32 v27, v8, v108
	v_fmac_f32_e32 v29, v10, v118
	v_fma_f32 v100, v10, v119, -v11
	v_fmac_f32_e32 v31, v4, v138
	v_fmamk_f32 v4, v5, 0xbf5db3d7, v0
	v_fmac_f32_e32 v0, 0x3f5db3d7, v5
	v_add_f32_e32 v3, v6, v25
	v_add_f32_e32 v6, v142, v143
	v_fmamk_f32 v5, v7, 0x3f5db3d7, v1
	v_fmac_f32_e32 v1, 0xbf5db3d7, v7
	v_add_f32_e32 v7, v26, v28
	v_add_f32_e32 v10, v113, v26
	v_fma_f32 v30, v8, v109, -v9
	v_add_f32_e32 v8, v112, v142
	v_fma_f32 v112, -0.5, v6, v112
	v_sub_f32_e32 v9, v26, v28
	v_fmac_f32_e32 v113, -0.5, v7
	v_sub_f32_e32 v11, v142, v143
	v_add_f32_e32 v7, v10, v28
	v_add_f32_e32 v10, v27, v29
	;; [unrolled: 1-line block ×3, first 2 shown]
	v_fmamk_f32 v8, v9, 0xbf5db3d7, v112
	v_fmac_f32_e32 v112, 0x3f5db3d7, v9
	v_fmamk_f32 v9, v11, 0x3f5db3d7, v113
	v_add_f32_e32 v24, v114, v27
	v_fmac_f32_e32 v113, 0xbf5db3d7, v11
	v_add_f32_e32 v11, v30, v100
	v_fma_f32 v10, -0.5, v10, v114
	v_sub_f32_e32 v25, v30, v100
	v_add_f32_e32 v28, v115, v30
	v_add_f32_e32 v24, v24, v29
	v_fma_f32 v11, -0.5, v11, v115
	v_sub_f32_e32 v29, v27, v29
	v_fmamk_f32 v26, v25, 0xbf5db3d7, v10
	v_fmac_f32_e32 v10, 0x3f5db3d7, v25
	v_add_f32_e32 v25, v28, v100
	v_add_f32_e32 v28, v31, v101
	v_fmamk_f32 v27, v29, 0x3f5db3d7, v11
	v_add_f32_e32 v30, v116, v31
	v_fmac_f32_e32 v11, 0xbf5db3d7, v29
	v_add_f32_e32 v29, v102, v104
	v_fma_f32 v116, -0.5, v28, v116
	v_sub_f32_e32 v88, v102, v104
	v_add_f32_e32 v100, v117, v102
	v_add_f32_e32 v28, v30, v101
	v_fmac_f32_e32 v117, -0.5, v29
	v_sub_f32_e32 v101, v31, v101
	v_fmamk_f32 v30, v88, 0xbf5db3d7, v116
	v_fmac_f32_e32 v116, 0x3f5db3d7, v88
	v_add_f32_e32 v29, v100, v104
	v_add_f32_e32 v88, v103, v105
	;; [unrolled: 1-line block ×3, first 2 shown]
	v_fmamk_f32 v31, v101, 0x3f5db3d7, v117
	v_fmac_f32_e32 v117, 0xbf5db3d7, v101
	v_add_f32_e32 v101, v98, v103
	v_fma_f32 v98, -0.5, v88, v98
	v_sub_f32_e32 v102, v106, v89
	v_add_f32_e32 v104, v99, v106
	v_fmac_f32_e32 v99, -0.5, v100
	v_sub_f32_e32 v103, v103, v105
	v_add_f32_e32 v88, v101, v105
	v_fmamk_f32 v100, v102, 0xbf5db3d7, v98
	v_fmac_f32_e32 v98, 0x3f5db3d7, v102
	v_add_f32_e32 v89, v104, v89
	v_fmamk_f32 v101, v103, 0x3f5db3d7, v99
	v_fmac_f32_e32 v99, 0xbf5db3d7, v103
	ds_write2_b64 v137, v[2:3], v[4:5] offset1:17
	ds_write_b64 v137, v[0:1] offset:272
	ds_write2_b64 v136, v[6:7], v[8:9] offset1:17
	ds_write_b64 v136, v[112:113] offset:272
	;; [unrolled: 2-line block ×5, first 2 shown]
	s_waitcnt lgkmcnt(0)
	s_barrier
	buffer_gl0_inv
	ds_read2_b64 v[0:3], v97 offset0:110 offset1:229
	ds_read2_b64 v[4:7], v94 offset0:74 offset1:193
	;; [unrolled: 1-line block ×5, first 2 shown]
	ds_read2_b64 v[98:101], v129 offset1:119
	ds_read2_b64 v[102:105], v92 offset0:38 offset1:157
	ds_read_b64 v[88:89], v129 offset:13328
	s_waitcnt lgkmcnt(0)
	s_barrier
	buffer_gl0_inv
	v_mul_f32_e32 v106, v53, v3
	v_mul_f32_e32 v53, v53, v2
	;; [unrolled: 1-line block ×5, first 2 shown]
	v_fmac_f32_e32 v106, v52, v2
	v_fma_f32 v52, v52, v3, -v53
	v_fmac_f32_e32 v107, v54, v4
	v_fma_f32 v53, v54, v5, -v55
	v_mul_f32_e32 v2, v49, v10
	v_mul_f32_e32 v5, v51, v25
	;; [unrolled: 1-line block ×5, first 2 shown]
	v_fma_f32 v45, v48, v11, -v2
	v_fmac_f32_e32 v5, v50, v24
	v_fma_f32 v24, v50, v25, -v3
	v_fmac_f32_e32 v49, v44, v28
	v_fma_f32 v44, v44, v29, -v4
	v_mul_f32_e32 v29, v47, v7
	v_mul_f32_e32 v2, v47, v6
	v_mul_f32_e32 v47, v37, v103
	v_mul_f32_e32 v3, v37, v102
	v_mul_f32_e32 v37, v39, v27
	v_fmac_f32_e32 v29, v46, v6
	v_fma_f32 v46, v46, v7, -v2
	v_fmac_f32_e32 v47, v36, v102
	v_fma_f32 v36, v36, v103, -v3
	v_mul_f32_e32 v2, v39, v26
	v_mul_f32_e32 v39, v41, v31
	;; [unrolled: 1-line block ×5, first 2 shown]
	v_fmac_f32_e32 v108, v48, v10
	v_fmac_f32_e32 v39, v40, v30
	v_fma_f32 v40, v40, v31, -v3
	v_fmac_f32_e32 v41, v42, v8
	v_fma_f32 v42, v42, v9, -v4
	v_mul_f32_e32 v3, v33, v104
	v_add_f32_e32 v4, v98, v106
	v_fmac_f32_e32 v37, v38, v26
	v_fma_f32 v38, v38, v27, -v2
	v_add_f32_e32 v2, v107, v108
	v_fma_f32 v48, v32, v105, -v3
	v_add_f32_e32 v3, v4, v107
	v_sub_f32_e32 v6, v106, v107
	v_sub_f32_e32 v8, v5, v108
	v_add_f32_e32 v10, v106, v5
	v_fma_f32 v2, -0.5, v2, v98
	v_sub_f32_e32 v7, v52, v24
	v_sub_f32_e32 v9, v53, v45
	v_mul_f32_e32 v11, v35, v88
	v_add_f32_e32 v3, v3, v108
	v_add_f32_e32 v25, v6, v8
	v_fma_f32 v6, -0.5, v10, v98
	v_mul_f32_e32 v43, v33, v105
	v_mul_f32_e32 v33, v35, v89
	v_fmamk_f32 v4, v7, 0xbf737871, v2
	v_fma_f32 v35, v34, v89, -v11
	v_add_f32_e32 v8, v3, v5
	v_fmac_f32_e32 v2, 0x3f737871, v7
	v_fmamk_f32 v10, v9, 0x3f737871, v6
	v_sub_f32_e32 v3, v107, v106
	v_sub_f32_e32 v11, v108, v5
	v_add_f32_e32 v26, v99, v52
	v_add_f32_e32 v27, v53, v45
	v_fmac_f32_e32 v6, 0xbf737871, v9
	v_fmac_f32_e32 v4, 0xbf167918, v9
	v_fmac_f32_e32 v2, 0x3f167918, v9
	v_fmac_f32_e32 v10, 0xbf167918, v7
	v_add_f32_e32 v11, v3, v11
	v_add_f32_e32 v9, v26, v53
	v_fma_f32 v3, -0.5, v27, v99
	v_sub_f32_e32 v27, v106, v5
	v_fmac_f32_e32 v6, 0x3f167918, v7
	v_add_f32_e32 v7, v52, v24
	v_fmac_f32_e32 v4, 0x3e9e377a, v25
	v_fmac_f32_e32 v2, 0x3e9e377a, v25
	v_add_f32_e32 v9, v9, v45
	v_fmamk_f32 v5, v27, 0x3f737871, v3
	v_sub_f32_e32 v25, v107, v108
	v_sub_f32_e32 v26, v52, v53
	;; [unrolled: 1-line block ×3, first 2 shown]
	v_fma_f32 v7, -0.5, v7, v99
	v_fmac_f32_e32 v3, 0xbf737871, v27
	v_add_f32_e32 v31, v100, v49
	v_fmac_f32_e32 v10, 0x3e9e377a, v11
	v_fmac_f32_e32 v6, 0x3e9e377a, v11
	v_add_f32_e32 v9, v9, v24
	v_fmac_f32_e32 v5, 0x3f167918, v25
	v_add_f32_e32 v26, v26, v28
	v_fmamk_f32 v11, v25, 0xbf737871, v7
	v_sub_f32_e32 v28, v53, v52
	v_sub_f32_e32 v24, v45, v24
	v_add_f32_e32 v30, v29, v47
	v_fmac_f32_e32 v3, 0xbf167918, v25
	v_fmac_f32_e32 v7, 0x3f737871, v25
	v_add_f32_e32 v25, v31, v29
	v_add_f32_e32 v45, v49, v37
	v_fmac_f32_e32 v43, v32, v104
	v_fmac_f32_e32 v33, v34, v88
	;; [unrolled: 1-line block ×3, first 2 shown]
	v_add_f32_e32 v28, v28, v24
	v_fma_f32 v24, -0.5, v30, v100
	v_sub_f32_e32 v32, v44, v38
	v_sub_f32_e32 v31, v46, v36
	;; [unrolled: 1-line block ×4, first 2 shown]
	v_fmac_f32_e32 v7, 0xbf167918, v27
	v_add_f32_e32 v25, v25, v47
	v_fma_f32 v100, -0.5, v45, v100
	v_fmac_f32_e32 v5, 0x3e9e377a, v26
	v_fmac_f32_e32 v3, 0x3e9e377a, v26
	;; [unrolled: 1-line block ×3, first 2 shown]
	v_fmamk_f32 v26, v32, 0xbf737871, v24
	v_add_f32_e32 v27, v30, v34
	v_fmac_f32_e32 v7, 0x3e9e377a, v28
	v_add_f32_e32 v28, v25, v37
	v_fmac_f32_e32 v24, 0x3f737871, v32
	v_fmamk_f32 v30, v31, 0x3f737871, v100
	v_sub_f32_e32 v25, v29, v49
	v_sub_f32_e32 v34, v47, v37
	v_add_f32_e32 v45, v101, v44
	v_fmac_f32_e32 v100, 0xbf737871, v31
	v_fmac_f32_e32 v26, 0xbf167918, v31
	;; [unrolled: 1-line block ×3, first 2 shown]
	v_add_f32_e32 v50, v46, v36
	v_fmac_f32_e32 v30, 0xbf167918, v32
	v_add_f32_e32 v34, v25, v34
	v_add_f32_e32 v31, v45, v46
	v_fmac_f32_e32 v100, 0x3f167918, v32
	v_fma_f32 v25, -0.5, v50, v101
	v_sub_f32_e32 v37, v49, v37
	v_fmac_f32_e32 v30, 0x3e9e377a, v34
	v_add_f32_e32 v31, v31, v36
	v_add_f32_e32 v32, v44, v38
	v_sub_f32_e32 v49, v38, v36
	v_fmac_f32_e32 v100, 0x3e9e377a, v34
	v_sub_f32_e32 v34, v46, v44
	v_sub_f32_e32 v36, v36, v38
	v_fmac_f32_e32 v26, 0x3e9e377a, v27
	v_fmac_f32_e32 v24, 0x3e9e377a, v27
	v_fmamk_f32 v27, v37, 0x3f737871, v25
	v_sub_f32_e32 v45, v29, v47
	v_sub_f32_e32 v47, v44, v46
	v_fmac_f32_e32 v101, -0.5, v32
	v_add_f32_e32 v29, v31, v38
	v_fmac_f32_e32 v25, 0xbf737871, v37
	v_add_f32_e32 v38, v41, v43
	v_add_f32_e32 v34, v34, v36
	;; [unrolled: 1-line block ×3, first 2 shown]
	v_fmac_f32_e32 v27, 0x3f167918, v45
	v_add_f32_e32 v32, v47, v49
	v_fmamk_f32 v31, v45, 0xbf737871, v101
	v_fmac_f32_e32 v25, 0xbf167918, v45
	v_fmac_f32_e32 v101, 0x3f737871, v45
	v_fma_f32 v88, -0.5, v38, v0
	v_sub_f32_e32 v38, v40, v35
	v_add_f32_e32 v36, v36, v41
	v_add_f32_e32 v46, v39, v33
	v_fmac_f32_e32 v27, 0x3e9e377a, v32
	v_fmac_f32_e32 v31, 0x3f167918, v37
	v_fmac_f32_e32 v25, 0x3e9e377a, v32
	v_fmac_f32_e32 v101, 0xbf167918, v37
	v_fmamk_f32 v32, v38, 0xbf737871, v88
	v_sub_f32_e32 v37, v42, v48
	v_sub_f32_e32 v44, v39, v41
	;; [unrolled: 1-line block ×3, first 2 shown]
	v_fmac_f32_e32 v88, 0x3f737871, v38
	v_add_f32_e32 v36, v36, v43
	v_fma_f32 v0, -0.5, v46, v0
	v_fmac_f32_e32 v31, 0x3e9e377a, v34
	v_fmac_f32_e32 v32, 0xbf167918, v37
	v_add_f32_e32 v44, v44, v45
	v_fmac_f32_e32 v88, 0x3f167918, v37
	v_fmac_f32_e32 v101, 0x3e9e377a, v34
	v_add_f32_e32 v34, v36, v33
	v_fmamk_f32 v36, v37, 0x3f737871, v0
	v_fmac_f32_e32 v0, 0xbf737871, v37
	v_fmac_f32_e32 v32, 0x3e9e377a, v44
	;; [unrolled: 1-line block ×3, first 2 shown]
	v_add_f32_e32 v44, v42, v48
	v_sub_f32_e32 v45, v41, v39
	v_sub_f32_e32 v46, v43, v33
	v_add_f32_e32 v37, v1, v40
	v_fmac_f32_e32 v36, 0xbf167918, v38
	v_fmac_f32_e32 v0, 0x3f167918, v38
	v_add_f32_e32 v38, v40, v35
	v_fma_f32 v89, -0.5, v44, v1
	v_sub_f32_e32 v39, v39, v33
	v_add_f32_e32 v44, v45, v46
	v_add_f32_e32 v37, v37, v42
	v_sub_f32_e32 v41, v41, v43
	v_fmac_f32_e32 v1, -0.5, v38
	v_fmamk_f32 v33, v39, 0x3f737871, v89
	v_fmac_f32_e32 v36, 0x3e9e377a, v44
	v_fmac_f32_e32 v0, 0x3e9e377a, v44
	v_add_f32_e32 v43, v37, v48
	v_sub_f32_e32 v38, v40, v42
	v_sub_f32_e32 v44, v35, v48
	v_fmamk_f32 v37, v41, 0xbf737871, v1
	v_sub_f32_e32 v40, v42, v40
	v_sub_f32_e32 v42, v48, v35
	v_fmac_f32_e32 v1, 0x3f737871, v41
	v_fmac_f32_e32 v89, 0xbf737871, v39
	;; [unrolled: 1-line block ×3, first 2 shown]
	v_add_f32_e32 v38, v38, v44
	v_fmac_f32_e32 v37, 0x3f167918, v39
	v_add_f32_e32 v40, v40, v42
	v_fmac_f32_e32 v1, 0xbf167918, v39
	v_fmac_f32_e32 v89, 0xbf167918, v41
	v_add_f32_e32 v35, v43, v35
	v_fmac_f32_e32 v33, 0x3e9e377a, v38
	v_fmac_f32_e32 v37, 0x3e9e377a, v40
	;; [unrolled: 1-line block ×4, first 2 shown]
	ds_write2_b64 v132, v[8:9], v[4:5] offset1:51
	ds_write2_b64 v132, v[10:11], v[6:7] offset0:102 offset1:153
	ds_write_b64 v132, v[2:3] offset:1632
	ds_write2_b64 v131, v[28:29], v[26:27] offset1:51
	ds_write2_b64 v131, v[30:31], v[100:101] offset0:102 offset1:153
	ds_write_b64 v131, v[24:25] offset:1632
	;; [unrolled: 3-line block ×3, first 2 shown]
	s_waitcnt lgkmcnt(0)
	s_barrier
	buffer_gl0_inv
	ds_read2_b64 v[0:3], v129 offset1:119
	ds_read2_b64 v[36:39], v97 offset0:127 offset1:246
	ds_read2_b64 v[28:31], v93 offset0:126 offset1:245
	;; [unrolled: 1-line block ×6, first 2 shown]
	s_and_saveexec_b32 s1, s0
	s_cbranch_execz .LBB0_19
; %bb.18:
	v_add_nc_u32_e32 v40, 0x770, v129
	v_add_nc_u32_e32 v41, 0x1760, v129
	;; [unrolled: 1-line block ×3, first 2 shown]
	ds_read2_b64 v[88:91], v40 offset1:255
	ds_read2_b64 v[80:83], v41 offset1:255
	;; [unrolled: 1-line block ×3, first 2 shown]
	ds_read_b64 v[125:126], v129 offset:14144
.LBB0_19:
	s_or_b32 exec_lo, exec_lo, s1
	s_waitcnt lgkmcnt(5)
	v_mul_f32_e32 v40, v77, v37
	v_mul_f32_e32 v41, v77, v36
	s_waitcnt lgkmcnt(4)
	v_mul_f32_e32 v42, v79, v29
	v_mul_f32_e32 v43, v79, v28
	s_waitcnt lgkmcnt(1)
	v_mul_f32_e32 v44, v57, v9
	v_fmac_f32_e32 v40, v76, v36
	v_fma_f32 v36, v76, v37, -v41
	v_fmac_f32_e32 v42, v78, v28
	v_fma_f32 v28, v78, v29, -v43
	v_mul_f32_e32 v29, v69, v33
	v_mul_f32_e32 v37, v69, v32
	;; [unrolled: 1-line block ×4, first 2 shown]
	v_fmac_f32_e32 v44, v56, v8
	v_fmac_f32_e32 v29, v68, v32
	v_fma_f32 v32, v68, v33, -v37
	v_fmac_f32_e32 v41, v70, v4
	v_fma_f32 v4, v70, v5, -v43
	v_mul_f32_e32 v5, v57, v8
	s_waitcnt lgkmcnt(0)
	v_mul_f32_e32 v8, v59, v25
	v_mul_f32_e32 v33, v59, v24
	;; [unrolled: 1-line block ×4, first 2 shown]
	v_fma_f32 v5, v56, v9, -v5
	v_fmac_f32_e32 v8, v58, v24
	v_fma_f32 v9, v58, v25, -v33
	v_fmac_f32_e32 v37, v72, v38
	v_fma_f32 v33, v72, v39, -v43
	v_mul_f32_e32 v38, v75, v31
	v_mul_f32_e32 v24, v75, v30
	;; [unrolled: 1-line block ×5, first 2 shown]
	v_fmac_f32_e32 v38, v74, v30
	v_fma_f32 v30, v74, v31, -v24
	v_fmac_f32_e32 v39, v64, v34
	v_fmac_f32_e32 v43, v66, v6
	v_mul_f32_e32 v6, v67, v6
	v_mul_f32_e32 v34, v61, v11
	v_mul_f32_e32 v24, v61, v10
	v_fma_f32 v31, v64, v35, -v25
	v_mul_f32_e32 v35, v63, v27
	v_mul_f32_e32 v25, v63, v26
	v_fma_f32 v45, v66, v7, -v6
	v_fmac_f32_e32 v34, v60, v10
	v_fma_f32 v46, v60, v11, -v24
	v_add_f32_e32 v6, v40, v8
	v_add_f32_e32 v7, v36, v9
	;; [unrolled: 1-line block ×4, first 2 shown]
	v_fmac_f32_e32 v35, v62, v26
	v_fma_f32 v47, v62, v27, -v25
	v_sub_f32_e32 v8, v40, v8
	v_sub_f32_e32 v9, v36, v9
	;; [unrolled: 1-line block ×4, first 2 shown]
	v_add_f32_e32 v25, v29, v41
	v_add_f32_e32 v26, v32, v4
	v_sub_f32_e32 v27, v41, v29
	v_sub_f32_e32 v4, v4, v32
	v_add_f32_e32 v28, v10, v6
	v_add_f32_e32 v29, v11, v7
	v_sub_f32_e32 v32, v10, v6
	v_sub_f32_e32 v36, v11, v7
	;; [unrolled: 1-line block ×6, first 2 shown]
	v_add_f32_e32 v40, v27, v24
	v_add_f32_e32 v41, v4, v5
	v_sub_f32_e32 v42, v27, v24
	v_sub_f32_e32 v44, v4, v5
	;; [unrolled: 1-line block ×3, first 2 shown]
	v_add_f32_e32 v25, v25, v28
	v_add_f32_e32 v26, v26, v29
	v_sub_f32_e32 v5, v5, v9
	v_sub_f32_e32 v27, v8, v27
	;; [unrolled: 1-line block ×3, first 2 shown]
	v_add_f32_e32 v8, v40, v8
	v_add_f32_e32 v9, v41, v9
	;; [unrolled: 1-line block ×4, first 2 shown]
	v_mul_f32_e32 v6, 0x3f4a47b2, v6
	v_mul_f32_e32 v7, 0x3f4a47b2, v7
	;; [unrolled: 1-line block ×8, first 2 shown]
	v_fmamk_f32 v25, v25, 0xbf955555, v0
	v_fmamk_f32 v26, v26, 0xbf955555, v1
	;; [unrolled: 1-line block ×4, first 2 shown]
	v_fma_f32 v28, 0x3f3bfb3b, v32, -v28
	v_fma_f32 v29, 0x3f3bfb3b, v36, -v29
	;; [unrolled: 1-line block ×4, first 2 shown]
	v_fmamk_f32 v32, v27, 0xbeae86e6, v40
	v_fmamk_f32 v36, v4, 0xbeae86e6, v41
	v_fma_f32 v24, 0xbf5ff5aa, v24, -v40
	v_fma_f32 v40, 0xbf5ff5aa, v5, -v41
	;; [unrolled: 1-line block ×4, first 2 shown]
	v_add_f32_e32 v42, v10, v25
	v_add_f32_e32 v44, v11, v26
	;; [unrolled: 1-line block ×6, first 2 shown]
	v_fmac_f32_e32 v32, 0xbee1c552, v8
	v_fmac_f32_e32 v36, 0xbee1c552, v9
	;; [unrolled: 1-line block ×6, first 2 shown]
	v_add_f32_e32 v4, v36, v42
	v_sub_f32_e32 v5, v44, v32
	v_add_f32_e32 v6, v41, v25
	v_sub_f32_e32 v7, v26, v27
	v_add_f32_e32 v9, v24, v11
	v_sub_f32_e32 v11, v11, v24
	v_sub_f32_e32 v24, v25, v41
	v_add_f32_e32 v25, v27, v26
	v_sub_f32_e32 v26, v42, v36
	v_add_f32_e32 v27, v32, v44
	v_add_f32_e32 v28, v37, v35
	;; [unrolled: 1-line block ×3, first 2 shown]
	v_sub_f32_e32 v32, v37, v35
	v_add_f32_e32 v35, v38, v34
	v_add_f32_e32 v36, v30, v46
	v_sub_f32_e32 v8, v10, v40
	v_add_f32_e32 v10, v40, v10
	v_sub_f32_e32 v34, v38, v34
	v_sub_f32_e32 v30, v30, v46
	v_add_f32_e32 v37, v39, v43
	v_add_f32_e32 v38, v31, v45
	v_sub_f32_e32 v39, v43, v39
	v_sub_f32_e32 v31, v45, v31
	v_add_f32_e32 v40, v35, v28
	v_add_f32_e32 v41, v36, v29
	v_sub_f32_e32 v33, v33, v47
	v_sub_f32_e32 v42, v35, v28
	;; [unrolled: 1-line block ×7, first 2 shown]
	v_add_f32_e32 v44, v39, v34
	v_add_f32_e32 v45, v31, v30
	v_sub_f32_e32 v46, v39, v34
	v_sub_f32_e32 v47, v31, v30
	v_add_f32_e32 v37, v37, v40
	v_add_f32_e32 v38, v38, v41
	v_sub_f32_e32 v34, v34, v32
	v_sub_f32_e32 v30, v30, v33
	;; [unrolled: 1-line block ×4, first 2 shown]
	v_add_f32_e32 v32, v44, v32
	v_add_f32_e32 v33, v45, v33
	;; [unrolled: 1-line block ×4, first 2 shown]
	v_mul_f32_e32 v28, 0x3f4a47b2, v28
	v_mul_f32_e32 v29, 0x3f4a47b2, v29
	;; [unrolled: 1-line block ×8, first 2 shown]
	v_fmamk_f32 v37, v37, 0xbf955555, v2
	v_fmamk_f32 v38, v38, 0xbf955555, v3
	;; [unrolled: 1-line block ×4, first 2 shown]
	v_fma_f32 v40, 0x3f3bfb3b, v42, -v40
	v_fma_f32 v41, 0x3f3bfb3b, v43, -v41
	;; [unrolled: 1-line block ×4, first 2 shown]
	v_fmamk_f32 v42, v39, 0xbeae86e6, v44
	v_fmamk_f32 v43, v31, 0xbeae86e6, v45
	v_fma_f32 v44, 0xbf5ff5aa, v34, -v44
	v_fma_f32 v34, 0xbf5ff5aa, v30, -v45
	;; [unrolled: 1-line block ×4, first 2 shown]
	v_add_f32_e32 v46, v35, v37
	v_add_f32_e32 v47, v36, v38
	v_fmac_f32_e32 v42, 0xbee1c552, v32
	v_fmac_f32_e32 v43, 0xbee1c552, v33
	v_add_f32_e32 v35, v40, v37
	v_add_f32_e32 v36, v41, v38
	;; [unrolled: 1-line block ×4, first 2 shown]
	v_fmac_f32_e32 v45, 0xbee1c552, v33
	v_fmac_f32_e32 v39, 0xbee1c552, v32
	;; [unrolled: 1-line block ×4, first 2 shown]
	v_add_f32_e32 v28, v43, v46
	v_sub_f32_e32 v29, v47, v42
	v_add_f32_e32 v30, v45, v37
	v_sub_f32_e32 v31, v38, v39
	v_sub_f32_e32 v32, v35, v34
	v_add_f32_e32 v33, v44, v36
	v_add_f32_e32 v34, v34, v35
	v_sub_f32_e32 v35, v36, v44
	v_sub_f32_e32 v36, v37, v45
	v_add_f32_e32 v37, v39, v38
	v_sub_f32_e32 v38, v46, v43
	v_add_f32_e32 v39, v42, v47
	ds_write2_b64 v129, v[0:1], v[2:3] offset1:119
	ds_write2_b64 v97, v[4:5], v[28:29] offset0:127 offset1:246
	ds_write2_b64 v93, v[6:7], v[30:31] offset0:126 offset1:245
	;; [unrolled: 1-line block ×6, first 2 shown]
	s_and_saveexec_b32 s1, s0
	s_cbranch_execz .LBB0_21
; %bb.20:
	v_mul_f32_e32 v0, v17, v91
	v_mul_f32_e32 v1, v15, v85
	;; [unrolled: 1-line block ×11, first 2 shown]
	v_fmac_f32_e32 v2, v12, v82
	v_fmac_f32_e32 v3, v18, v80
	;; [unrolled: 1-line block ×3, first 2 shown]
	v_fma_f32 v8, v22, v126, -v8
	v_fma_f32 v11, v16, v91, -v11
	v_fma_f32 v16, v20, v87, -v21
	v_fma_f32 v18, v18, v81, -v19
	v_fma_f32 v12, v12, v83, -v13
	v_fma_f32 v13, v14, v85, -v15
	v_mul_f32_e32 v5, v23, v126
	v_fmac_f32_e32 v1, v14, v84
	v_fmac_f32_e32 v4, v20, v86
	v_add_f32_e32 v19, v8, v11
	v_add_f32_e32 v14, v16, v18
	;; [unrolled: 1-line block ×3, first 2 shown]
	v_fmac_f32_e32 v5, v22, v125
	v_sub_f32_e32 v6, v1, v2
	v_sub_f32_e32 v7, v3, v4
	v_add_f32_e32 v21, v14, v19
	v_sub_f32_e32 v22, v19, v20
	v_sub_f32_e32 v9, v0, v5
	v_add_f32_e32 v5, v5, v0
	v_add_f32_e32 v4, v4, v3
	;; [unrolled: 1-line block ×3, first 2 shown]
	v_sub_f32_e32 v0, v20, v14
	v_mul_f32_e32 v20, 0x3f4a47b2, v22
	v_add_f32_e32 v2, v2, v1
	v_add_f32_e32 v3, v4, v5
	;; [unrolled: 1-line block ×3, first 2 shown]
	v_mul_f32_e32 v22, 0x3d64c772, v0
	v_fmamk_f32 v23, v0, 0x3d64c772, v20
	v_sub_f32_e32 v0, v5, v2
	v_sub_f32_e32 v12, v13, v12
	v_sub_f32_e32 v13, v18, v16
	v_sub_f32_e32 v10, v6, v7
	v_sub_f32_e32 v17, v9, v6
	v_add_f32_e32 v6, v6, v7
	v_sub_f32_e32 v8, v11, v8
	v_sub_f32_e32 v7, v7, v9
	v_fmamk_f32 v21, v21, 0xbf955555, v1
	v_add_f32_e32 v3, v2, v3
	v_mul_f32_e32 v16, 0x3f4a47b2, v0
	v_sub_f32_e32 v2, v2, v4
	v_sub_f32_e32 v11, v12, v13
	v_mul_f32_e32 v10, 0x3f08b237, v10
	v_add_f32_e32 v6, v6, v9
	v_mul_f32_e32 v9, 0xbf5ff5aa, v7
	v_sub_f32_e32 v14, v14, v19
	v_sub_f32_e32 v4, v4, v5
	;; [unrolled: 1-line block ×3, first 2 shown]
	v_add_f32_e32 v0, v88, v3
	v_add_f32_e32 v18, v23, v21
	v_fmamk_f32 v23, v2, 0x3d64c772, v16
	v_sub_f32_e32 v25, v8, v12
	v_mul_f32_e32 v11, 0x3f08b237, v11
	v_mul_f32_e32 v2, 0x3d64c772, v2
	v_add_f32_e32 v12, v12, v13
	v_fmamk_f32 v15, v17, 0xbeae86e6, v10
	v_fma_f32 v13, 0x3eae86e6, v17, -v9
	v_fma_f32 v9, 0xbf3bfb3b, v14, -v20
	v_mul_f32_e32 v17, 0xbf5ff5aa, v5
	v_fmamk_f32 v24, v3, 0xbf955555, v0
	v_fmamk_f32 v26, v25, 0xbeae86e6, v11
	v_add_f32_e32 v8, v12, v8
	v_fma_f32 v11, 0xbf5ff5aa, v5, -v11
	v_fma_f32 v2, 0x3f3bfb3b, v4, -v2
	;; [unrolled: 1-line block ×3, first 2 shown]
	v_add_f32_e32 v12, v9, v21
	v_fma_f32 v17, 0x3eae86e6, v25, -v17
	v_fma_f32 v9, 0x3f3bfb3b, v14, -v22
	;; [unrolled: 1-line block ×3, first 2 shown]
	v_fmac_f32_e32 v15, 0xbee1c552, v6
	v_add_f32_e32 v23, v23, v24
	v_fmac_f32_e32 v13, 0xbee1c552, v6
	v_fmac_f32_e32 v11, 0xbee1c552, v8
	v_add_f32_e32 v2, v2, v24
	v_fmac_f32_e32 v26, 0xbee1c552, v8
	v_add_f32_e32 v16, v16, v24
	;; [unrolled: 2-line block ×4, first 2 shown]
	v_add_f32_e32 v6, v11, v2
	v_sub_f32_e32 v8, v2, v11
	v_sub_f32_e32 v11, v12, v13
	;; [unrolled: 1-line block ×3, first 2 shown]
	v_add_f32_e32 v12, v26, v23
	v_add_nc_u32_e32 v14, 0x770, v129
	v_add_f32_e32 v3, v15, v18
	v_sub_f32_e32 v7, v9, v10
	v_add_f32_e32 v9, v10, v9
	v_add_f32_e32 v10, v17, v16
	v_add_nc_u32_e32 v15, 0x1760, v129
	v_sub_f32_e32 v4, v16, v17
	v_add_nc_u32_e32 v16, 0x2750, v129
	v_sub_f32_e32 v2, v23, v26
	ds_write2_b64 v14, v[0:1], v[12:13] offset1:255
	ds_write2_b64 v15, v[10:11], v[8:9] offset1:255
	;; [unrolled: 1-line block ×3, first 2 shown]
	ds_write_b64 v129, v[2:3] offset:14144
.LBB0_21:
	s_or_b32 exec_lo, exec_lo, s1
	s_waitcnt lgkmcnt(0)
	s_barrier
	buffer_gl0_inv
	s_and_b32 exec_lo, exec_lo, vcc_lo
	s_cbranch_execz .LBB0_23
; %bb.22:
	global_load_dwordx2 v[0:1], v127, s[12:13]
	ds_read_b64 v[2:3], v129
	s_mov_b32 s0, 0x125b8012
	s_mov_b32 s1, 0x3f425b80
	v_mad_u64_u32 v[6:7], null, s4, v128, 0
	s_mul_i32 s2, s5, 0x348
	s_mul_i32 s3, s4, 0x348
	s_waitcnt vmcnt(0) lgkmcnt(0)
	v_mul_f32_e32 v4, v3, v1
	v_mul_f32_e32 v1, v2, v1
	v_fmac_f32_e32 v4, v2, v0
	v_fma_f32 v2, v0, v3, -v1
	v_cvt_f64_f32_e32 v[0:1], v4
	v_cvt_f64_f32_e32 v[2:3], v2
	v_mad_u64_u32 v[4:5], null, s6, v124, 0
	v_mad_u64_u32 v[8:9], null, s7, v124, v[5:6]
	v_mad_u64_u32 v[9:10], null, s5, v128, v[7:8]
	v_mov_b32_e32 v5, v8
	s_mul_hi_u32 s5, s4, 0x348
	v_mul_f64 v[0:1], v[0:1], s[0:1]
	v_mul_f64 v[2:3], v[2:3], s[0:1]
	s_add_i32 s2, s5, s2
	v_add_co_u32 v10, s4, s12, v127
	v_mov_b32_e32 v7, v9
	v_add_co_ci_u32_e64 v11, null, s13, 0, s4
	v_cvt_f32_f64_e32 v0, v[0:1]
	v_cvt_f32_f64_e32 v1, v[2:3]
	v_lshlrev_b64 v[2:3], 3, v[4:5]
	v_lshlrev_b64 v[4:5], 3, v[6:7]
	v_add_co_u32 v2, vcc_lo, s14, v2
	v_add_co_ci_u32_e32 v3, vcc_lo, s15, v3, vcc_lo
	v_add_co_u32 v4, vcc_lo, v2, v4
	v_add_co_ci_u32_e32 v5, vcc_lo, v3, v5, vcc_lo
	global_store_dwordx2 v[4:5], v[0:1], off
	global_load_dwordx2 v[6:7], v127, s[12:13] offset:840
	ds_read2_b64 v[0:3], v127 offset0:105 offset1:210
	v_add_co_u32 v4, vcc_lo, v4, s3
	v_add_co_ci_u32_e32 v5, vcc_lo, s2, v5, vcc_lo
	s_waitcnt vmcnt(0) lgkmcnt(0)
	v_mul_f32_e32 v8, v1, v7
	v_mul_f32_e32 v7, v0, v7
	v_fmac_f32_e32 v8, v0, v6
	v_fma_f32 v6, v6, v1, -v7
	v_cvt_f64_f32_e32 v[0:1], v8
	v_cvt_f64_f32_e32 v[6:7], v6
	v_mul_f64 v[0:1], v[0:1], s[0:1]
	v_mul_f64 v[6:7], v[6:7], s[0:1]
	v_cvt_f32_f64_e32 v0, v[0:1]
	v_cvt_f32_f64_e32 v1, v[6:7]
	global_store_dwordx2 v[4:5], v[0:1], off
	global_load_dwordx2 v[0:1], v127, s[12:13] offset:1680
	v_add_co_u32 v4, vcc_lo, v4, s3
	v_add_co_ci_u32_e32 v5, vcc_lo, s2, v5, vcc_lo
	s_waitcnt vmcnt(0)
	v_mul_f32_e32 v6, v3, v1
	v_mul_f32_e32 v1, v2, v1
	v_fmac_f32_e32 v6, v2, v0
	v_fma_f32 v2, v0, v3, -v1
	v_cvt_f64_f32_e32 v[0:1], v6
	v_cvt_f64_f32_e32 v[2:3], v2
	v_add_co_u32 v6, vcc_lo, 0x800, v10
	v_add_co_ci_u32_e32 v7, vcc_lo, 0, v11, vcc_lo
	v_mul_f64 v[0:1], v[0:1], s[0:1]
	v_mul_f64 v[2:3], v[2:3], s[0:1]
	v_cvt_f32_f64_e32 v0, v[0:1]
	v_cvt_f32_f64_e32 v1, v[2:3]
	global_store_dwordx2 v[4:5], v[0:1], off
	global_load_dwordx2 v[8:9], v[6:7], off offset:472
	v_add_nc_u32_e32 v0, 0x800, v127
	v_add_co_u32 v4, vcc_lo, v4, s3
	v_add_co_ci_u32_e32 v5, vcc_lo, s2, v5, vcc_lo
	ds_read2_b64 v[0:3], v0 offset0:59 offset1:164
	s_waitcnt vmcnt(0) lgkmcnt(0)
	v_mul_f32_e32 v12, v1, v9
	v_mul_f32_e32 v9, v0, v9
	v_fmac_f32_e32 v12, v0, v8
	v_fma_f32 v8, v8, v1, -v9
	v_cvt_f64_f32_e32 v[0:1], v12
	v_cvt_f64_f32_e32 v[8:9], v8
	v_mul_f64 v[0:1], v[0:1], s[0:1]
	v_mul_f64 v[8:9], v[8:9], s[0:1]
	v_cvt_f32_f64_e32 v0, v[0:1]
	v_cvt_f32_f64_e32 v1, v[8:9]
	global_store_dwordx2 v[4:5], v[0:1], off
	global_load_dwordx2 v[0:1], v[6:7], off offset:1312
	v_add_co_u32 v4, vcc_lo, v4, s3
	v_add_co_ci_u32_e32 v5, vcc_lo, s2, v5, vcc_lo
	s_waitcnt vmcnt(0)
	v_mul_f32_e32 v6, v3, v1
	v_mul_f32_e32 v1, v2, v1
	v_fmac_f32_e32 v6, v2, v0
	v_fma_f32 v2, v0, v3, -v1
	v_cvt_f64_f32_e32 v[0:1], v6
	v_cvt_f64_f32_e32 v[2:3], v2
	v_add_co_u32 v6, vcc_lo, 0x1000, v10
	v_add_co_ci_u32_e32 v7, vcc_lo, 0, v11, vcc_lo
	v_mul_f64 v[0:1], v[0:1], s[0:1]
	v_mul_f64 v[2:3], v[2:3], s[0:1]
	v_cvt_f32_f64_e32 v0, v[0:1]
	v_cvt_f32_f64_e32 v1, v[2:3]
	global_store_dwordx2 v[4:5], v[0:1], off
	global_load_dwordx2 v[8:9], v[6:7], off offset:104
	v_add_nc_u32_e32 v0, 0x1000, v127
	v_add_co_u32 v4, vcc_lo, v4, s3
	v_add_co_ci_u32_e32 v5, vcc_lo, s2, v5, vcc_lo
	ds_read2_b64 v[0:3], v0 offset0:13 offset1:118
	s_waitcnt vmcnt(0) lgkmcnt(0)
	v_mul_f32_e32 v12, v1, v9
	v_mul_f32_e32 v9, v0, v9
	v_fmac_f32_e32 v12, v0, v8
	v_fma_f32 v8, v8, v1, -v9
	v_cvt_f64_f32_e32 v[0:1], v12
	v_cvt_f64_f32_e32 v[8:9], v8
	v_mul_f64 v[0:1], v[0:1], s[0:1]
	v_mul_f64 v[8:9], v[8:9], s[0:1]
	v_cvt_f32_f64_e32 v0, v[0:1]
	v_cvt_f32_f64_e32 v1, v[8:9]
	global_store_dwordx2 v[4:5], v[0:1], off
	global_load_dwordx2 v[0:1], v[6:7], off offset:944
	v_add_co_u32 v4, vcc_lo, v4, s3
	v_add_co_ci_u32_e32 v5, vcc_lo, s2, v5, vcc_lo
	s_waitcnt vmcnt(0)
	v_mul_f32_e32 v8, v3, v1
	v_mul_f32_e32 v1, v2, v1
	v_fmac_f32_e32 v8, v2, v0
	v_fma_f32 v2, v0, v3, -v1
	v_cvt_f64_f32_e32 v[0:1], v8
	v_cvt_f64_f32_e32 v[2:3], v2
	v_mul_f64 v[0:1], v[0:1], s[0:1]
	v_mul_f64 v[2:3], v[2:3], s[0:1]
	v_cvt_f32_f64_e32 v0, v[0:1]
	v_cvt_f32_f64_e32 v1, v[2:3]
	global_store_dwordx2 v[4:5], v[0:1], off
	global_load_dwordx2 v[6:7], v[6:7], off offset:1784
	v_add_nc_u32_e32 v0, 0x1400, v127
	v_add_co_u32 v4, vcc_lo, v4, s3
	v_add_co_ci_u32_e32 v5, vcc_lo, s2, v5, vcc_lo
	ds_read2_b64 v[0:3], v0 offset0:95 offset1:200
	s_waitcnt vmcnt(0) lgkmcnt(0)
	v_mul_f32_e32 v8, v1, v7
	v_mul_f32_e32 v7, v0, v7
	v_fmac_f32_e32 v8, v0, v6
	v_fma_f32 v6, v6, v1, -v7
	v_cvt_f64_f32_e32 v[0:1], v8
	v_cvt_f64_f32_e32 v[6:7], v6
	v_mul_f64 v[0:1], v[0:1], s[0:1]
	v_mul_f64 v[6:7], v[6:7], s[0:1]
	v_cvt_f32_f64_e32 v0, v[0:1]
	v_cvt_f32_f64_e32 v1, v[6:7]
	v_add_co_u32 v6, vcc_lo, 0x1800, v10
	v_add_co_ci_u32_e32 v7, vcc_lo, 0, v11, vcc_lo
	global_store_dwordx2 v[4:5], v[0:1], off
	global_load_dwordx2 v[0:1], v[6:7], off offset:576
	v_add_co_u32 v4, vcc_lo, v4, s3
	v_add_co_ci_u32_e32 v5, vcc_lo, s2, v5, vcc_lo
	s_waitcnt vmcnt(0)
	v_mul_f32_e32 v8, v3, v1
	v_mul_f32_e32 v1, v2, v1
	v_fmac_f32_e32 v8, v2, v0
	v_fma_f32 v2, v0, v3, -v1
	v_cvt_f64_f32_e32 v[0:1], v8
	v_cvt_f64_f32_e32 v[2:3], v2
	v_mul_f64 v[0:1], v[0:1], s[0:1]
	v_mul_f64 v[2:3], v[2:3], s[0:1]
	v_cvt_f32_f64_e32 v0, v[0:1]
	v_cvt_f32_f64_e32 v1, v[2:3]
	global_store_dwordx2 v[4:5], v[0:1], off
	global_load_dwordx2 v[6:7], v[6:7], off offset:1416
	v_add_nc_u32_e32 v0, 0x1c00, v127
	v_add_co_u32 v4, vcc_lo, v4, s3
	v_add_co_ci_u32_e32 v5, vcc_lo, s2, v5, vcc_lo
	ds_read2_b64 v[0:3], v0 offset0:49 offset1:154
	s_waitcnt vmcnt(0) lgkmcnt(0)
	v_mul_f32_e32 v8, v1, v7
	v_mul_f32_e32 v7, v0, v7
	v_fmac_f32_e32 v8, v0, v6
	v_fma_f32 v6, v6, v1, -v7
	v_cvt_f64_f32_e32 v[0:1], v8
	v_cvt_f64_f32_e32 v[6:7], v6
	v_mul_f64 v[0:1], v[0:1], s[0:1]
	v_mul_f64 v[6:7], v[6:7], s[0:1]
	v_cvt_f32_f64_e32 v0, v[0:1]
	v_cvt_f32_f64_e32 v1, v[6:7]
	v_add_co_u32 v6, vcc_lo, 0x2000, v10
	v_add_co_ci_u32_e32 v7, vcc_lo, 0, v11, vcc_lo
	global_store_dwordx2 v[4:5], v[0:1], off
	global_load_dwordx2 v[0:1], v[6:7], off offset:208
	v_add_co_u32 v4, vcc_lo, v4, s3
	v_add_co_ci_u32_e32 v5, vcc_lo, s2, v5, vcc_lo
	s_waitcnt vmcnt(0)
	v_mul_f32_e32 v8, v3, v1
	v_mul_f32_e32 v1, v2, v1
	v_fmac_f32_e32 v8, v2, v0
	v_fma_f32 v2, v0, v3, -v1
	v_cvt_f64_f32_e32 v[0:1], v8
	v_cvt_f64_f32_e32 v[2:3], v2
	v_mul_f64 v[0:1], v[0:1], s[0:1]
	v_mul_f64 v[2:3], v[2:3], s[0:1]
	v_cvt_f32_f64_e32 v0, v[0:1]
	v_cvt_f32_f64_e32 v1, v[2:3]
	global_store_dwordx2 v[4:5], v[0:1], off
	global_load_dwordx2 v[8:9], v[6:7], off offset:1048
	v_add_nc_u32_e32 v0, 0x2000, v127
	v_add_co_u32 v4, vcc_lo, v4, s3
	v_add_co_ci_u32_e32 v5, vcc_lo, s2, v5, vcc_lo
	ds_read2_b64 v[0:3], v0 offset0:131 offset1:236
	s_waitcnt vmcnt(0) lgkmcnt(0)
	v_mul_f32_e32 v12, v1, v9
	v_mul_f32_e32 v9, v0, v9
	v_fmac_f32_e32 v12, v0, v8
	v_fma_f32 v8, v8, v1, -v9
	v_cvt_f64_f32_e32 v[0:1], v12
	v_cvt_f64_f32_e32 v[8:9], v8
	v_mul_f64 v[0:1], v[0:1], s[0:1]
	v_mul_f64 v[8:9], v[8:9], s[0:1]
	v_cvt_f32_f64_e32 v0, v[0:1]
	v_cvt_f32_f64_e32 v1, v[8:9]
	global_store_dwordx2 v[4:5], v[0:1], off
	global_load_dwordx2 v[0:1], v[6:7], off offset:1888
	v_add_co_u32 v4, vcc_lo, v4, s3
	v_add_co_ci_u32_e32 v5, vcc_lo, s2, v5, vcc_lo
	s_waitcnt vmcnt(0)
	v_mul_f32_e32 v6, v3, v1
	v_mul_f32_e32 v1, v2, v1
	v_fmac_f32_e32 v6, v2, v0
	v_fma_f32 v2, v0, v3, -v1
	v_cvt_f64_f32_e32 v[0:1], v6
	v_cvt_f64_f32_e32 v[2:3], v2
	v_add_co_u32 v6, vcc_lo, 0x2800, v10
	v_add_co_ci_u32_e32 v7, vcc_lo, 0, v11, vcc_lo
	v_mul_f64 v[0:1], v[0:1], s[0:1]
	v_mul_f64 v[2:3], v[2:3], s[0:1]
	v_cvt_f32_f64_e32 v0, v[0:1]
	v_cvt_f32_f64_e32 v1, v[2:3]
	global_store_dwordx2 v[4:5], v[0:1], off
	global_load_dwordx2 v[8:9], v[6:7], off offset:680
	v_add_nc_u32_e32 v0, 0x2800, v127
	v_add_co_u32 v4, vcc_lo, v4, s3
	v_add_co_ci_u32_e32 v5, vcc_lo, s2, v5, vcc_lo
	ds_read2_b64 v[0:3], v0 offset0:85 offset1:190
	s_waitcnt vmcnt(0) lgkmcnt(0)
	v_mul_f32_e32 v12, v1, v9
	v_mul_f32_e32 v9, v0, v9
	v_fmac_f32_e32 v12, v0, v8
	v_fma_f32 v8, v8, v1, -v9
	v_cvt_f64_f32_e32 v[0:1], v12
	v_cvt_f64_f32_e32 v[8:9], v8
	v_mul_f64 v[0:1], v[0:1], s[0:1]
	v_mul_f64 v[8:9], v[8:9], s[0:1]
	v_cvt_f32_f64_e32 v0, v[0:1]
	v_cvt_f32_f64_e32 v1, v[8:9]
	global_store_dwordx2 v[4:5], v[0:1], off
	global_load_dwordx2 v[0:1], v[6:7], off offset:1520
	v_add_co_u32 v4, vcc_lo, v4, s3
	v_add_co_ci_u32_e32 v5, vcc_lo, s2, v5, vcc_lo
	s_waitcnt vmcnt(0)
	v_mul_f32_e32 v6, v3, v1
	v_mul_f32_e32 v1, v2, v1
	v_fmac_f32_e32 v6, v2, v0
	v_fma_f32 v2, v0, v3, -v1
	v_cvt_f64_f32_e32 v[0:1], v6
	v_cvt_f64_f32_e32 v[2:3], v2
	v_add_co_u32 v6, vcc_lo, 0x3000, v10
	v_add_co_ci_u32_e32 v7, vcc_lo, 0, v11, vcc_lo
	v_mul_f64 v[0:1], v[0:1], s[0:1]
	v_mul_f64 v[2:3], v[2:3], s[0:1]
	v_cvt_f32_f64_e32 v0, v[0:1]
	v_cvt_f32_f64_e32 v1, v[2:3]
	global_store_dwordx2 v[4:5], v[0:1], off
	global_load_dwordx2 v[8:9], v[6:7], off offset:312
	v_add_nc_u32_e32 v0, 0x3000, v127
	v_add_co_u32 v4, vcc_lo, v4, s3
	v_add_co_ci_u32_e32 v5, vcc_lo, s2, v5, vcc_lo
	ds_read2_b64 v[0:3], v0 offset0:39 offset1:144
	s_waitcnt vmcnt(0) lgkmcnt(0)
	v_mul_f32_e32 v10, v1, v9
	v_mul_f32_e32 v9, v0, v9
	v_fmac_f32_e32 v10, v0, v8
	v_fma_f32 v8, v8, v1, -v9
	v_cvt_f64_f32_e32 v[0:1], v10
	v_cvt_f64_f32_e32 v[8:9], v8
	v_mul_f64 v[0:1], v[0:1], s[0:1]
	v_mul_f64 v[8:9], v[8:9], s[0:1]
	v_cvt_f32_f64_e32 v0, v[0:1]
	v_cvt_f32_f64_e32 v1, v[8:9]
	global_store_dwordx2 v[4:5], v[0:1], off
	global_load_dwordx2 v[0:1], v[6:7], off offset:1152
	s_waitcnt vmcnt(0)
	v_mul_f32_e32 v6, v3, v1
	v_mul_f32_e32 v1, v2, v1
	v_fmac_f32_e32 v6, v2, v0
	v_fma_f32 v2, v0, v3, -v1
	v_cvt_f64_f32_e32 v[0:1], v6
	v_cvt_f64_f32_e32 v[2:3], v2
	v_mul_f64 v[0:1], v[0:1], s[0:1]
	v_mul_f64 v[2:3], v[2:3], s[0:1]
	v_cvt_f32_f64_e32 v0, v[0:1]
	v_cvt_f32_f64_e32 v1, v[2:3]
	v_add_co_u32 v2, vcc_lo, v4, s3
	v_add_co_ci_u32_e32 v3, vcc_lo, s2, v5, vcc_lo
	global_store_dwordx2 v[2:3], v[0:1], off
.LBB0_23:
	s_endpgm
	.section	.rodata,"a",@progbits
	.p2align	6, 0x0
	.amdhsa_kernel bluestein_single_fwd_len1785_dim1_sp_op_CI_CI
		.amdhsa_group_segment_fixed_size 14280
		.amdhsa_private_segment_fixed_size 0
		.amdhsa_kernarg_size 104
		.amdhsa_user_sgpr_count 6
		.amdhsa_user_sgpr_private_segment_buffer 1
		.amdhsa_user_sgpr_dispatch_ptr 0
		.amdhsa_user_sgpr_queue_ptr 0
		.amdhsa_user_sgpr_kernarg_segment_ptr 1
		.amdhsa_user_sgpr_dispatch_id 0
		.amdhsa_user_sgpr_flat_scratch_init 0
		.amdhsa_user_sgpr_private_segment_size 0
		.amdhsa_wavefront_size32 1
		.amdhsa_uses_dynamic_stack 0
		.amdhsa_system_sgpr_private_segment_wavefront_offset 0
		.amdhsa_system_sgpr_workgroup_id_x 1
		.amdhsa_system_sgpr_workgroup_id_y 0
		.amdhsa_system_sgpr_workgroup_id_z 0
		.amdhsa_system_sgpr_workgroup_info 0
		.amdhsa_system_vgpr_workitem_id 0
		.amdhsa_next_free_vgpr 244
		.amdhsa_next_free_sgpr 16
		.amdhsa_reserve_vcc 1
		.amdhsa_reserve_flat_scratch 0
		.amdhsa_float_round_mode_32 0
		.amdhsa_float_round_mode_16_64 0
		.amdhsa_float_denorm_mode_32 3
		.amdhsa_float_denorm_mode_16_64 3
		.amdhsa_dx10_clamp 1
		.amdhsa_ieee_mode 1
		.amdhsa_fp16_overflow 0
		.amdhsa_workgroup_processor_mode 1
		.amdhsa_memory_ordered 1
		.amdhsa_forward_progress 0
		.amdhsa_shared_vgpr_count 0
		.amdhsa_exception_fp_ieee_invalid_op 0
		.amdhsa_exception_fp_denorm_src 0
		.amdhsa_exception_fp_ieee_div_zero 0
		.amdhsa_exception_fp_ieee_overflow 0
		.amdhsa_exception_fp_ieee_underflow 0
		.amdhsa_exception_fp_ieee_inexact 0
		.amdhsa_exception_int_div_zero 0
	.end_amdhsa_kernel
	.text
.Lfunc_end0:
	.size	bluestein_single_fwd_len1785_dim1_sp_op_CI_CI, .Lfunc_end0-bluestein_single_fwd_len1785_dim1_sp_op_CI_CI
                                        ; -- End function
	.section	.AMDGPU.csdata,"",@progbits
; Kernel info:
; codeLenInByte = 23928
; NumSgprs: 18
; NumVgprs: 244
; ScratchSize: 0
; MemoryBound: 0
; FloatMode: 240
; IeeeMode: 1
; LDSByteSize: 14280 bytes/workgroup (compile time only)
; SGPRBlocks: 2
; VGPRBlocks: 30
; NumSGPRsForWavesPerEU: 18
; NumVGPRsForWavesPerEU: 244
; Occupancy: 4
; WaveLimiterHint : 1
; COMPUTE_PGM_RSRC2:SCRATCH_EN: 0
; COMPUTE_PGM_RSRC2:USER_SGPR: 6
; COMPUTE_PGM_RSRC2:TRAP_HANDLER: 0
; COMPUTE_PGM_RSRC2:TGID_X_EN: 1
; COMPUTE_PGM_RSRC2:TGID_Y_EN: 0
; COMPUTE_PGM_RSRC2:TGID_Z_EN: 0
; COMPUTE_PGM_RSRC2:TIDIG_COMP_CNT: 0
	.text
	.p2alignl 6, 3214868480
	.fill 48, 4, 3214868480
	.type	__hip_cuid_62272c1ef58176e5,@object ; @__hip_cuid_62272c1ef58176e5
	.section	.bss,"aw",@nobits
	.globl	__hip_cuid_62272c1ef58176e5
__hip_cuid_62272c1ef58176e5:
	.byte	0                               ; 0x0
	.size	__hip_cuid_62272c1ef58176e5, 1

	.ident	"AMD clang version 19.0.0git (https://github.com/RadeonOpenCompute/llvm-project roc-6.4.0 25133 c7fe45cf4b819c5991fe208aaa96edf142730f1d)"
	.section	".note.GNU-stack","",@progbits
	.addrsig
	.addrsig_sym __hip_cuid_62272c1ef58176e5
	.amdgpu_metadata
---
amdhsa.kernels:
  - .args:
      - .actual_access:  read_only
        .address_space:  global
        .offset:         0
        .size:           8
        .value_kind:     global_buffer
      - .actual_access:  read_only
        .address_space:  global
        .offset:         8
        .size:           8
        .value_kind:     global_buffer
      - .actual_access:  read_only
        .address_space:  global
        .offset:         16
        .size:           8
        .value_kind:     global_buffer
      - .actual_access:  read_only
        .address_space:  global
        .offset:         24
        .size:           8
        .value_kind:     global_buffer
      - .actual_access:  read_only
        .address_space:  global
        .offset:         32
        .size:           8
        .value_kind:     global_buffer
      - .offset:         40
        .size:           8
        .value_kind:     by_value
      - .address_space:  global
        .offset:         48
        .size:           8
        .value_kind:     global_buffer
      - .address_space:  global
        .offset:         56
        .size:           8
        .value_kind:     global_buffer
      - .address_space:  global
        .offset:         64
        .size:           8
        .value_kind:     global_buffer
      - .address_space:  global
        .offset:         72
        .size:           8
        .value_kind:     global_buffer
      - .offset:         80
        .size:           4
        .value_kind:     by_value
      - .address_space:  global
        .offset:         88
        .size:           8
        .value_kind:     global_buffer
      - .address_space:  global
        .offset:         96
        .size:           8
        .value_kind:     global_buffer
    .group_segment_fixed_size: 14280
    .kernarg_segment_align: 8
    .kernarg_segment_size: 104
    .language:       OpenCL C
    .language_version:
      - 2
      - 0
    .max_flat_workgroup_size: 119
    .name:           bluestein_single_fwd_len1785_dim1_sp_op_CI_CI
    .private_segment_fixed_size: 0
    .sgpr_count:     18
    .sgpr_spill_count: 0
    .symbol:         bluestein_single_fwd_len1785_dim1_sp_op_CI_CI.kd
    .uniform_work_group_size: 1
    .uses_dynamic_stack: false
    .vgpr_count:     244
    .vgpr_spill_count: 0
    .wavefront_size: 32
    .workgroup_processor_mode: 1
amdhsa.target:   amdgcn-amd-amdhsa--gfx1030
amdhsa.version:
  - 1
  - 2
...

	.end_amdgpu_metadata
